;; amdgpu-corpus repo=ROCm/rocFFT kind=compiled arch=gfx1201 opt=O3
	.text
	.amdgcn_target "amdgcn-amd-amdhsa--gfx1201"
	.amdhsa_code_object_version 6
	.protected	fft_rtc_fwd_len182_factors_13_2_7_wgs_52_tpt_13_dp_op_CI_CI_sbrr_dirReg ; -- Begin function fft_rtc_fwd_len182_factors_13_2_7_wgs_52_tpt_13_dp_op_CI_CI_sbrr_dirReg
	.globl	fft_rtc_fwd_len182_factors_13_2_7_wgs_52_tpt_13_dp_op_CI_CI_sbrr_dirReg
	.p2align	8
	.type	fft_rtc_fwd_len182_factors_13_2_7_wgs_52_tpt_13_dp_op_CI_CI_sbrr_dirReg,@function
fft_rtc_fwd_len182_factors_13_2_7_wgs_52_tpt_13_dp_op_CI_CI_sbrr_dirReg: ; @fft_rtc_fwd_len182_factors_13_2_7_wgs_52_tpt_13_dp_op_CI_CI_sbrr_dirReg
; %bb.0:
	s_clause 0x2
	s_load_b128 s[12:15], s[0:1], 0x18
	s_load_b128 s[8:11], s[0:1], 0x0
	;; [unrolled: 1-line block ×3, first 2 shown]
	v_mul_u32_u24_e32 v1, 0x13b2, v0
	v_mov_b32_e32 v4, 0
	v_mov_b32_e32 v5, 0
	s_wait_kmcnt 0x0
	s_load_b64 s[18:19], s[12:13], 0x0
	s_load_b64 s[16:17], s[14:15], 0x0
	v_lshrrev_b32_e32 v115, 16, v1
	v_mov_b32_e32 v1, 0
	v_cmp_lt_u64_e64 s2, s[10:11], 2
	s_delay_alu instid0(VALU_DEP_3) | instskip(NEXT) | instid1(VALU_DEP_3)
	v_lshl_add_u32 v6, ttmp9, 2, v115
	v_mov_b32_e32 v7, v1
	s_delay_alu instid0(VALU_DEP_3)
	s_and_b32 vcc_lo, exec_lo, s2
	s_cbranch_vccnz .LBB0_8
; %bb.1:
	s_load_b64 s[2:3], s[0:1], 0x10
	v_mov_b32_e32 v4, 0
	v_mov_b32_e32 v5, 0
	s_add_nc_u64 s[20:21], s[14:15], 8
	s_add_nc_u64 s[22:23], s[12:13], 8
	s_mov_b64 s[24:25], 1
	s_delay_alu instid0(VALU_DEP_1)
	v_dual_mov_b32 v105, v5 :: v_dual_mov_b32 v104, v4
	s_wait_kmcnt 0x0
	s_add_nc_u64 s[26:27], s[2:3], 8
	s_mov_b32 s3, 0
.LBB0_2:                                ; =>This Inner Loop Header: Depth=1
	s_load_b64 s[28:29], s[26:27], 0x0
                                        ; implicit-def: $vgpr106_vgpr107
	s_mov_b32 s2, exec_lo
	s_wait_kmcnt 0x0
	v_or_b32_e32 v2, s29, v7
	s_delay_alu instid0(VALU_DEP_1)
	v_cmpx_ne_u64_e32 0, v[1:2]
	s_wait_alu 0xfffe
	s_xor_b32 s30, exec_lo, s2
	s_cbranch_execz .LBB0_4
; %bb.3:                                ;   in Loop: Header=BB0_2 Depth=1
	s_cvt_f32_u32 s2, s28
	s_cvt_f32_u32 s31, s29
	s_sub_nc_u64 s[36:37], 0, s[28:29]
	s_wait_alu 0xfffe
	s_delay_alu instid0(SALU_CYCLE_1) | instskip(SKIP_1) | instid1(SALU_CYCLE_2)
	s_fmamk_f32 s2, s31, 0x4f800000, s2
	s_wait_alu 0xfffe
	v_s_rcp_f32 s2, s2
	s_delay_alu instid0(TRANS32_DEP_1) | instskip(SKIP_1) | instid1(SALU_CYCLE_2)
	s_mul_f32 s2, s2, 0x5f7ffffc
	s_wait_alu 0xfffe
	s_mul_f32 s31, s2, 0x2f800000
	s_wait_alu 0xfffe
	s_delay_alu instid0(SALU_CYCLE_2) | instskip(SKIP_1) | instid1(SALU_CYCLE_2)
	s_trunc_f32 s31, s31
	s_wait_alu 0xfffe
	s_fmamk_f32 s2, s31, 0xcf800000, s2
	s_cvt_u32_f32 s35, s31
	s_wait_alu 0xfffe
	s_delay_alu instid0(SALU_CYCLE_1) | instskip(SKIP_1) | instid1(SALU_CYCLE_2)
	s_cvt_u32_f32 s34, s2
	s_wait_alu 0xfffe
	s_mul_u64 s[38:39], s[36:37], s[34:35]
	s_wait_alu 0xfffe
	s_mul_hi_u32 s41, s34, s39
	s_mul_i32 s40, s34, s39
	s_mul_hi_u32 s2, s34, s38
	s_mul_i32 s33, s35, s38
	s_wait_alu 0xfffe
	s_add_nc_u64 s[40:41], s[2:3], s[40:41]
	s_mul_hi_u32 s31, s35, s38
	s_mul_hi_u32 s42, s35, s39
	s_add_co_u32 s2, s40, s33
	s_wait_alu 0xfffe
	s_add_co_ci_u32 s2, s41, s31
	s_mul_i32 s38, s35, s39
	s_add_co_ci_u32 s39, s42, 0
	s_wait_alu 0xfffe
	s_add_nc_u64 s[38:39], s[2:3], s[38:39]
	s_wait_alu 0xfffe
	v_add_co_u32 v2, s2, s34, s38
	s_delay_alu instid0(VALU_DEP_1) | instskip(SKIP_1) | instid1(VALU_DEP_1)
	s_cmp_lg_u32 s2, 0
	s_add_co_ci_u32 s35, s35, s39
	v_readfirstlane_b32 s34, v2
	s_wait_alu 0xfffe
	s_delay_alu instid0(VALU_DEP_1)
	s_mul_u64 s[36:37], s[36:37], s[34:35]
	s_wait_alu 0xfffe
	s_mul_hi_u32 s39, s34, s37
	s_mul_i32 s38, s34, s37
	s_mul_hi_u32 s2, s34, s36
	s_mul_i32 s33, s35, s36
	s_wait_alu 0xfffe
	s_add_nc_u64 s[38:39], s[2:3], s[38:39]
	s_mul_hi_u32 s31, s35, s36
	s_mul_hi_u32 s34, s35, s37
	s_wait_alu 0xfffe
	s_add_co_u32 s2, s38, s33
	s_add_co_ci_u32 s2, s39, s31
	s_mul_i32 s36, s35, s37
	s_add_co_ci_u32 s37, s34, 0
	s_wait_alu 0xfffe
	s_add_nc_u64 s[36:37], s[2:3], s[36:37]
	s_wait_alu 0xfffe
	v_add_co_u32 v8, s2, v2, s36
	s_delay_alu instid0(VALU_DEP_1) | instskip(SKIP_1) | instid1(VALU_DEP_1)
	s_cmp_lg_u32 s2, 0
	s_add_co_ci_u32 s2, s35, s37
	v_mul_hi_u32 v12, v6, v8
	s_wait_alu 0xfffe
	v_mad_co_u64_u32 v[2:3], null, v6, s2, 0
	v_mad_co_u64_u32 v[8:9], null, v7, v8, 0
	;; [unrolled: 1-line block ×3, first 2 shown]
	s_delay_alu instid0(VALU_DEP_3) | instskip(SKIP_1) | instid1(VALU_DEP_4)
	v_add_co_u32 v2, vcc_lo, v12, v2
	s_wait_alu 0xfffd
	v_add_co_ci_u32_e32 v3, vcc_lo, 0, v3, vcc_lo
	s_delay_alu instid0(VALU_DEP_2) | instskip(SKIP_1) | instid1(VALU_DEP_2)
	v_add_co_u32 v2, vcc_lo, v2, v8
	s_wait_alu 0xfffd
	v_add_co_ci_u32_e32 v2, vcc_lo, v3, v9, vcc_lo
	s_wait_alu 0xfffd
	v_add_co_ci_u32_e32 v3, vcc_lo, 0, v11, vcc_lo
	s_delay_alu instid0(VALU_DEP_2) | instskip(SKIP_1) | instid1(VALU_DEP_2)
	v_add_co_u32 v8, vcc_lo, v2, v10
	s_wait_alu 0xfffd
	v_add_co_ci_u32_e32 v9, vcc_lo, 0, v3, vcc_lo
	s_delay_alu instid0(VALU_DEP_2) | instskip(SKIP_1) | instid1(VALU_DEP_3)
	v_mul_lo_u32 v10, s29, v8
	v_mad_co_u64_u32 v[2:3], null, s28, v8, 0
	v_mul_lo_u32 v11, s28, v9
	s_delay_alu instid0(VALU_DEP_2) | instskip(NEXT) | instid1(VALU_DEP_2)
	v_sub_co_u32 v2, vcc_lo, v6, v2
	v_add3_u32 v3, v3, v11, v10
	s_delay_alu instid0(VALU_DEP_1) | instskip(SKIP_1) | instid1(VALU_DEP_1)
	v_sub_nc_u32_e32 v10, v7, v3
	s_wait_alu 0xfffd
	v_subrev_co_ci_u32_e64 v10, s2, s29, v10, vcc_lo
	v_add_co_u32 v11, s2, v8, 2
	s_wait_alu 0xf1ff
	v_add_co_ci_u32_e64 v12, s2, 0, v9, s2
	v_sub_co_u32 v13, s2, v2, s28
	v_sub_co_ci_u32_e32 v3, vcc_lo, v7, v3, vcc_lo
	s_wait_alu 0xf1ff
	v_subrev_co_ci_u32_e64 v10, s2, 0, v10, s2
	s_delay_alu instid0(VALU_DEP_3) | instskip(NEXT) | instid1(VALU_DEP_3)
	v_cmp_le_u32_e32 vcc_lo, s28, v13
	v_cmp_eq_u32_e64 s2, s29, v3
	s_wait_alu 0xfffd
	v_cndmask_b32_e64 v13, 0, -1, vcc_lo
	v_cmp_le_u32_e32 vcc_lo, s29, v10
	s_wait_alu 0xfffd
	v_cndmask_b32_e64 v14, 0, -1, vcc_lo
	v_cmp_le_u32_e32 vcc_lo, s28, v2
	;; [unrolled: 3-line block ×3, first 2 shown]
	s_wait_alu 0xfffd
	v_cndmask_b32_e64 v15, 0, -1, vcc_lo
	v_cmp_eq_u32_e32 vcc_lo, s29, v10
	s_wait_alu 0xf1ff
	s_delay_alu instid0(VALU_DEP_2)
	v_cndmask_b32_e64 v2, v15, v2, s2
	s_wait_alu 0xfffd
	v_cndmask_b32_e32 v10, v14, v13, vcc_lo
	v_add_co_u32 v13, vcc_lo, v8, 1
	s_wait_alu 0xfffd
	v_add_co_ci_u32_e32 v14, vcc_lo, 0, v9, vcc_lo
	s_delay_alu instid0(VALU_DEP_3) | instskip(SKIP_1) | instid1(VALU_DEP_2)
	v_cmp_ne_u32_e32 vcc_lo, 0, v10
	s_wait_alu 0xfffd
	v_dual_cndmask_b32 v3, v14, v12 :: v_dual_cndmask_b32 v10, v13, v11
	v_cmp_ne_u32_e32 vcc_lo, 0, v2
	s_wait_alu 0xfffd
	s_delay_alu instid0(VALU_DEP_2)
	v_dual_cndmask_b32 v107, v9, v3 :: v_dual_cndmask_b32 v106, v8, v10
.LBB0_4:                                ;   in Loop: Header=BB0_2 Depth=1
	s_wait_alu 0xfffe
	s_and_not1_saveexec_b32 s2, s30
	s_cbranch_execz .LBB0_6
; %bb.5:                                ;   in Loop: Header=BB0_2 Depth=1
	v_cvt_f32_u32_e32 v2, s28
	s_sub_co_i32 s30, 0, s28
	v_mov_b32_e32 v107, v1
	s_delay_alu instid0(VALU_DEP_2) | instskip(NEXT) | instid1(TRANS32_DEP_1)
	v_rcp_iflag_f32_e32 v2, v2
	v_mul_f32_e32 v2, 0x4f7ffffe, v2
	s_delay_alu instid0(VALU_DEP_1) | instskip(SKIP_1) | instid1(VALU_DEP_1)
	v_cvt_u32_f32_e32 v2, v2
	s_wait_alu 0xfffe
	v_mul_lo_u32 v3, s30, v2
	s_delay_alu instid0(VALU_DEP_1) | instskip(NEXT) | instid1(VALU_DEP_1)
	v_mul_hi_u32 v3, v2, v3
	v_add_nc_u32_e32 v2, v2, v3
	s_delay_alu instid0(VALU_DEP_1) | instskip(NEXT) | instid1(VALU_DEP_1)
	v_mul_hi_u32 v2, v6, v2
	v_mul_lo_u32 v3, v2, s28
	v_add_nc_u32_e32 v8, 1, v2
	s_delay_alu instid0(VALU_DEP_2) | instskip(NEXT) | instid1(VALU_DEP_1)
	v_sub_nc_u32_e32 v3, v6, v3
	v_subrev_nc_u32_e32 v9, s28, v3
	v_cmp_le_u32_e32 vcc_lo, s28, v3
	s_wait_alu 0xfffd
	s_delay_alu instid0(VALU_DEP_2) | instskip(NEXT) | instid1(VALU_DEP_1)
	v_dual_cndmask_b32 v3, v3, v9 :: v_dual_cndmask_b32 v2, v2, v8
	v_cmp_le_u32_e32 vcc_lo, s28, v3
	s_delay_alu instid0(VALU_DEP_2) | instskip(SKIP_1) | instid1(VALU_DEP_1)
	v_add_nc_u32_e32 v8, 1, v2
	s_wait_alu 0xfffd
	v_cndmask_b32_e32 v106, v2, v8, vcc_lo
.LBB0_6:                                ;   in Loop: Header=BB0_2 Depth=1
	s_wait_alu 0xfffe
	s_or_b32 exec_lo, exec_lo, s2
	v_mul_lo_u32 v8, v107, s28
	s_delay_alu instid0(VALU_DEP_2)
	v_mul_lo_u32 v9, v106, s29
	s_load_b64 s[30:31], s[22:23], 0x0
	v_mad_co_u64_u32 v[2:3], null, v106, s28, 0
	s_load_b64 s[28:29], s[20:21], 0x0
	s_add_nc_u64 s[24:25], s[24:25], 1
	s_add_nc_u64 s[20:21], s[20:21], 8
	s_wait_alu 0xfffe
	v_cmp_ge_u64_e64 s2, s[24:25], s[10:11]
	s_add_nc_u64 s[22:23], s[22:23], 8
	s_add_nc_u64 s[26:27], s[26:27], 8
	v_add3_u32 v3, v3, v9, v8
	v_sub_co_u32 v2, vcc_lo, v6, v2
	s_wait_alu 0xfffd
	s_delay_alu instid0(VALU_DEP_2) | instskip(SKIP_2) | instid1(VALU_DEP_1)
	v_sub_co_ci_u32_e32 v3, vcc_lo, v7, v3, vcc_lo
	s_and_b32 vcc_lo, exec_lo, s2
	s_wait_kmcnt 0x0
	v_mul_lo_u32 v6, s30, v3
	v_mul_lo_u32 v7, s31, v2
	v_mad_co_u64_u32 v[4:5], null, s30, v2, v[4:5]
	v_mul_lo_u32 v3, s28, v3
	v_mul_lo_u32 v8, s29, v2
	v_mad_co_u64_u32 v[104:105], null, s28, v2, v[104:105]
	s_delay_alu instid0(VALU_DEP_4) | instskip(NEXT) | instid1(VALU_DEP_2)
	v_add3_u32 v5, v7, v5, v6
	v_add3_u32 v105, v8, v105, v3
	s_wait_alu 0xfffe
	s_cbranch_vccnz .LBB0_9
; %bb.7:                                ;   in Loop: Header=BB0_2 Depth=1
	v_dual_mov_b32 v6, v106 :: v_dual_mov_b32 v7, v107
	s_branch .LBB0_2
.LBB0_8:
	v_dual_mov_b32 v105, v5 :: v_dual_mov_b32 v104, v4
	s_delay_alu instid0(VALU_DEP_2)
	v_dual_mov_b32 v107, v7 :: v_dual_mov_b32 v106, v6
.LBB0_9:
	s_load_b64 s[0:1], s[0:1], 0x28
	v_mul_hi_u32 v1, 0x13b13b14, v0
	s_lshl_b64 s[10:11], s[10:11], 3
                                        ; implicit-def: $vgpr108
	s_wait_alu 0xfffe
	s_add_nc_u64 s[2:3], s[14:15], s[10:11]
	s_wait_kmcnt 0x0
	v_cmp_gt_u64_e32 vcc_lo, s[0:1], v[106:107]
	v_cmp_le_u64_e64 s0, s[0:1], v[106:107]
	s_delay_alu instid0(VALU_DEP_1)
	s_and_saveexec_b32 s1, s0
	s_wait_alu 0xfffe
	s_xor_b32 s0, exec_lo, s1
; %bb.10:
	v_mul_u32_u24_e32 v1, 13, v1
                                        ; implicit-def: $vgpr4_vgpr5
	s_delay_alu instid0(VALU_DEP_1)
	v_sub_nc_u32_e32 v108, v0, v1
                                        ; implicit-def: $vgpr1
                                        ; implicit-def: $vgpr0
; %bb.11:
	s_wait_alu 0xfffe
	s_or_saveexec_b32 s1, s0
	s_load_b64 s[2:3], s[2:3], 0x0
                                        ; implicit-def: $vgpr14_vgpr15
                                        ; implicit-def: $vgpr22_vgpr23
                                        ; implicit-def: $vgpr30_vgpr31
                                        ; implicit-def: $vgpr34_vgpr35
                                        ; implicit-def: $vgpr38_vgpr39
                                        ; implicit-def: $vgpr46_vgpr47
                                        ; implicit-def: $vgpr50_vgpr51
                                        ; implicit-def: $vgpr42_vgpr43
                                        ; implicit-def: $vgpr26_vgpr27
                                        ; implicit-def: $vgpr18_vgpr19
                                        ; implicit-def: $vgpr10_vgpr11
                                        ; implicit-def: $vgpr6_vgpr7
                                        ; implicit-def: $vgpr2_vgpr3
                                        ; implicit-def: $vgpr58_vgpr59
                                        ; implicit-def: $vgpr82_vgpr83
                                        ; implicit-def: $vgpr94_vgpr95
                                        ; implicit-def: $vgpr98_vgpr99
                                        ; implicit-def: $vgpr102_vgpr103
                                        ; implicit-def: $vgpr86_vgpr87
                                        ; implicit-def: $vgpr90_vgpr91
                                        ; implicit-def: $vgpr78_vgpr79
                                        ; implicit-def: $vgpr74_vgpr75
                                        ; implicit-def: $vgpr70_vgpr71
                                        ; implicit-def: $vgpr66_vgpr67
                                        ; implicit-def: $vgpr62_vgpr63
                                        ; implicit-def: $vgpr54_vgpr55
	s_xor_b32 exec_lo, exec_lo, s1
	s_cbranch_execz .LBB0_15
; %bb.12:
	s_add_nc_u64 s[10:11], s[12:13], s[10:11]
	v_mul_u32_u24_e32 v1, 13, v1
	s_load_b64 s[10:11], s[10:11], 0x0
	v_lshlrev_b64_e32 v[4:5], 4, v[4:5]
                                        ; implicit-def: $vgpr24_vgpr25
                                        ; implicit-def: $vgpr40_vgpr41
                                        ; implicit-def: $vgpr48_vgpr49
                                        ; implicit-def: $vgpr44_vgpr45
                                        ; implicit-def: $vgpr36_vgpr37
                                        ; implicit-def: $vgpr32_vgpr33
                                        ; implicit-def: $vgpr28_vgpr29
	s_delay_alu instid0(VALU_DEP_2) | instskip(NEXT) | instid1(VALU_DEP_1)
	v_sub_nc_u32_e32 v108, v0, v1
	v_add_nc_u32_e32 v14, 14, v108
	v_mad_co_u64_u32 v[0:1], null, s18, v108, 0
	v_add_nc_u32_e32 v15, 28, v108
	v_add_nc_u32_e32 v20, 0xa8, v108
	s_delay_alu instid0(VALU_DEP_4) | instskip(NEXT) | instid1(VALU_DEP_3)
	v_mad_co_u64_u32 v[2:3], null, s18, v14, 0
	v_mad_co_u64_u32 v[6:7], null, s18, v15, 0
	s_wait_kmcnt 0x0
	v_mul_lo_u32 v17, s11, v106
	v_mul_lo_u32 v18, s10, v107
	v_mad_co_u64_u32 v[8:9], null, s10, v106, 0
	v_mad_co_u64_u32 v[12:13], null, s19, v108, v[1:2]
	s_delay_alu instid0(VALU_DEP_2) | instskip(NEXT) | instid1(VALU_DEP_2)
	v_add3_u32 v9, v9, v18, v17
	v_mov_b32_e32 v1, v12
	v_mad_co_u64_u32 v[12:13], null, s19, v14, v[3:4]
	s_delay_alu instid0(VALU_DEP_3) | instskip(SKIP_1) | instid1(VALU_DEP_4)
	v_lshlrev_b64_e32 v[8:9], 4, v[8:9]
	v_add_nc_u32_e32 v16, 42, v108
	v_lshlrev_b64_e32 v[0:1], 4, v[0:1]
	s_delay_alu instid0(VALU_DEP_4) | instskip(NEXT) | instid1(VALU_DEP_4)
	v_mov_b32_e32 v3, v12
	v_mad_co_u64_u32 v[13:14], null, s19, v15, v[7:8]
	v_add_co_u32 v7, s0, s4, v8
	s_wait_alu 0xf1ff
	v_add_co_ci_u32_e64 v8, s0, s5, v9, s0
	v_mad_co_u64_u32 v[10:11], null, s18, v16, 0
	s_delay_alu instid0(VALU_DEP_3) | instskip(SKIP_1) | instid1(VALU_DEP_3)
	v_add_co_u32 v14, s0, v7, v4
	s_wait_alu 0xf1ff
	v_add_co_ci_u32_e64 v15, s0, v8, v5, s0
	v_lshlrev_b64_e32 v[2:3], 4, v[2:3]
	s_delay_alu instid0(VALU_DEP_3) | instskip(SKIP_3) | instid1(VALU_DEP_4)
	v_add_co_u32 v0, s0, v14, v0
	v_mad_co_u64_u32 v[4:5], null, s19, v16, v[11:12]
	s_wait_alu 0xf1ff
	v_add_co_ci_u32_e64 v1, s0, v15, v1, s0
	v_add_co_u32 v2, s0, v14, v2
	v_dual_mov_b32 v7, v13 :: v_dual_add_nc_u32 v12, 0x46, v108
	s_wait_alu 0xf1ff
	v_add_co_ci_u32_e64 v3, s0, v15, v3, s0
	s_clause 0x1
	global_load_b128 v[52:55], v[0:1], off
	global_load_b128 v[60:63], v[2:3], off
	v_dual_mov_b32 v11, v4 :: v_dual_add_nc_u32 v16, 0x54, v108
	v_mad_co_u64_u32 v[3:4], null, s18, v12, 0
	v_add_nc_u32_e32 v19, 56, v108
	v_lshlrev_b64_e32 v[0:1], 4, v[6:7]
	s_delay_alu instid0(VALU_DEP_4) | instskip(SKIP_1) | instid1(VALU_DEP_3)
	v_lshlrev_b64_e32 v[5:6], 4, v[10:11]
	s_mov_b32 s4, exec_lo
	v_mad_co_u64_u32 v[8:9], null, s18, v19, 0
	s_delay_alu instid0(VALU_DEP_3) | instskip(SKIP_2) | instid1(VALU_DEP_3)
	v_add_co_u32 v0, s0, v14, v0
	s_wait_alu 0xf1ff
	v_add_co_ci_u32_e64 v1, s0, v15, v1, s0
	v_mov_b32_e32 v2, v9
	s_delay_alu instid0(VALU_DEP_1)
	v_mad_co_u64_u32 v[9:10], null, s19, v19, v[2:3]
	v_mov_b32_e32 v2, v4
	v_mad_co_u64_u32 v[10:11], null, s18, v16, 0
	v_add_co_u32 v4, s0, v14, v5
	s_wait_alu 0xf1ff
	v_add_co_ci_u32_e64 v5, s0, v15, v6, s0
	v_add_nc_u32_e32 v17, 0x62, v108
	v_mad_co_u64_u32 v[6:7], null, s19, v12, v[2:3]
	v_mov_b32_e32 v2, v11
	s_clause 0x1
	global_load_b128 v[64:67], v[0:1], off
	global_load_b128 v[68:71], v[4:5], off
	v_lshlrev_b64_e32 v[0:1], 4, v[8:9]
	v_mad_co_u64_u32 v[12:13], null, s18, v17, 0
	v_mad_co_u64_u32 v[7:8], null, s19, v16, v[2:3]
	v_mov_b32_e32 v4, v6
	v_or_b32_e32 v16, 0x70, v108
	v_add_co_u32 v0, s0, v14, v0
	v_mov_b32_e32 v2, v13
	s_wait_alu 0xf1ff
	v_add_co_ci_u32_e64 v1, s0, v15, v1, s0
	v_mov_b32_e32 v11, v7
	v_lshlrev_b64_e32 v[3:4], 4, v[3:4]
	v_mad_co_u64_u32 v[8:9], null, s18, v16, 0
	s_delay_alu instid0(VALU_DEP_2) | instskip(SKIP_2) | instid1(VALU_DEP_4)
	v_mad_co_u64_u32 v[5:6], null, s19, v17, v[2:3]
	v_add_co_u32 v2, s0, v14, v3
	s_wait_alu 0xf1ff
	v_add_co_ci_u32_e64 v3, s0, v15, v4, s0
	v_lshlrev_b64_e32 v[6:7], 4, v[10:11]
	s_clause 0x1
	global_load_b128 v[72:75], v[0:1], off
	global_load_b128 v[76:79], v[2:3], off
	v_dual_mov_b32 v13, v5 :: v_dual_mov_b32 v2, v9
	v_add_nc_u32_e32 v17, 0x7e, v108
	v_add_co_u32 v0, s0, v14, v6
	s_delay_alu instid0(VALU_DEP_3) | instskip(SKIP_2) | instid1(VALU_DEP_2)
	v_lshlrev_b64_e32 v[3:4], 4, v[12:13]
	s_wait_alu 0xf1ff
	v_add_co_ci_u32_e64 v1, s0, v15, v7, s0
	v_mad_co_u64_u32 v[5:6], null, s19, v16, v[2:3]
	v_add_nc_u32_e32 v18, 0x8c, v108
	v_mad_co_u64_u32 v[6:7], null, s18, v17, 0
	v_add_nc_u32_e32 v19, 0x9a, v108
	v_add_co_u32 v2, s0, v14, v3
	v_mov_b32_e32 v9, v5
	v_mad_co_u64_u32 v[10:11], null, s18, v18, 0
	s_wait_alu 0xf1ff
	v_add_co_ci_u32_e64 v3, s0, v15, v4, s0
	v_mov_b32_e32 v4, v7
	v_mad_co_u64_u32 v[12:13], null, s18, v19, 0
	s_clause 0x1
	global_load_b128 v[88:91], v[0:1], off
	global_load_b128 v[84:87], v[2:3], off
	v_mov_b32_e32 v5, v11
	v_lshlrev_b64_e32 v[1:2], 4, v[8:9]
	s_delay_alu instid0(VALU_DEP_2) | instskip(SKIP_2) | instid1(VALU_DEP_3)
	v_mad_co_u64_u32 v[16:17], null, s19, v17, v[4:5]
	v_mad_co_u64_u32 v[4:5], null, s19, v18, v[5:6]
	;; [unrolled: 1-line block ×3, first 2 shown]
	v_dual_mov_b32 v0, v13 :: v_dual_mov_b32 v7, v16
	s_delay_alu instid0(VALU_DEP_3) | instskip(NEXT) | instid1(VALU_DEP_2)
	v_mov_b32_e32 v11, v4
	v_mad_co_u64_u32 v[3:4], null, s19, v19, v[0:1]
	s_delay_alu instid0(VALU_DEP_4) | instskip(SKIP_4) | instid1(VALU_DEP_3)
	v_mov_b32_e32 v0, v18
	v_add_co_u32 v1, s0, v14, v1
	v_lshlrev_b64_e32 v[4:5], 4, v[6:7]
	s_wait_alu 0xf1ff
	v_add_co_ci_u32_e64 v2, s0, v15, v2, s0
	v_mad_co_u64_u32 v[6:7], null, s19, v20, v[0:1]
	v_lshlrev_b64_e32 v[7:8], 4, v[10:11]
	v_mov_b32_e32 v13, v3
	v_add_co_u32 v3, s0, v14, v4
	s_wait_alu 0xf1ff
	v_add_co_ci_u32_e64 v4, s0, v15, v5, s0
	v_mov_b32_e32 v18, v6
	v_lshlrev_b64_e32 v[9:10], 4, v[12:13]
	v_add_co_u32 v5, s0, v14, v7
	s_wait_alu 0xf1ff
	v_add_co_ci_u32_e64 v6, s0, v15, v8, s0
	v_lshlrev_b64_e32 v[7:8], 4, v[17:18]
	s_delay_alu instid0(VALU_DEP_4) | instskip(SKIP_2) | instid1(VALU_DEP_3)
	v_add_co_u32 v9, s0, v14, v9
	s_wait_alu 0xf1ff
	v_add_co_ci_u32_e64 v10, s0, v15, v10, s0
                                        ; implicit-def: $vgpr16_vgpr17
                                        ; implicit-def: $vgpr20_vgpr21
                                        ; implicit-def: $vgpr12_vgpr13
	v_add_co_u32 v7, s0, v14, v7
	s_wait_alu 0xf1ff
	v_add_co_ci_u32_e64 v8, s0, v15, v8, s0
	s_clause 0x4
	global_load_b128 v[100:103], v[1:2], off
	global_load_b128 v[96:99], v[3:4], off
	;; [unrolled: 1-line block ×5, first 2 shown]
                                        ; implicit-def: $vgpr0_vgpr1
                                        ; implicit-def: $vgpr4_vgpr5
                                        ; implicit-def: $vgpr8_vgpr9
	v_cmpx_eq_u32_e32 0, v108
	s_cbranch_execz .LBB0_14
; %bb.13:
	v_mad_co_u64_u32 v[4:5], null, 0x1b0, s18, v[14:15]
	v_mad_co_u64_u32 v[8:9], null, 0x290, s18, v[14:15]
	;; [unrolled: 1-line block ×4, first 2 shown]
	s_delay_alu instid0(VALU_DEP_4) | instskip(SKIP_3) | instid1(VALU_DEP_4)
	v_mov_b32_e32 v2, v5
	v_mad_co_u64_u32 v[20:21], null, 0x450, s18, v[14:15]
	v_mov_b32_e32 v3, v9
	v_mad_co_u64_u32 v[22:23], null, 0x530, s18, v[14:15]
	v_mad_co_u64_u32 v[5:6], null, 0xd0, s19, v[1:2]
	s_delay_alu instid0(VALU_DEP_3)
	v_mad_co_u64_u32 v[6:7], null, 0x1b0, s19, v[2:3]
	v_mad_co_u64_u32 v[2:3], null, 0x290, s19, v[3:4]
	v_mov_b32_e32 v3, v13
	v_mov_b32_e32 v13, v21
	v_mad_co_u64_u32 v[28:29], null, 0x610, s18, v[14:15]
	v_mov_b32_e32 v1, v5
	s_delay_alu instid0(VALU_DEP_4) | instskip(NEXT) | instid1(VALU_DEP_4)
	v_mad_co_u64_u32 v[16:17], null, 0x370, s19, v[3:4]
	v_mad_co_u64_u32 v[17:18], null, 0x450, s19, v[13:14]
	s_delay_alu instid0(VALU_DEP_4)
	v_dual_mov_b32 v18, v23 :: v_dual_mov_b32 v19, v29
	v_mov_b32_e32 v5, v6
	v_mov_b32_e32 v9, v2
	;; [unrolled: 1-line block ×3, first 2 shown]
	global_load_b128 v[0:3], v[0:1], off
	v_mov_b32_e32 v21, v17
	v_mad_co_u64_u32 v[23:24], null, 0x530, s19, v[18:19]
	s_clause 0x1
	global_load_b128 v[4:7], v[4:5], off
	global_load_b128 v[8:11], v[8:9], off
	v_mad_co_u64_u32 v[32:33], null, 0x610, s19, v[19:20]
	s_clause 0x1
	global_load_b128 v[16:19], v[12:13], off
	global_load_b128 v[24:27], v[20:21], off
	v_mad_co_u64_u32 v[30:31], null, 0x6f0, s18, v[14:15]
	v_mad_co_u64_u32 v[33:34], null, 0x7d0, s18, v[14:15]
	;; [unrolled: 1-line block ×7, first 2 shown]
	v_mov_b32_e32 v13, v34
	v_mov_b32_e32 v29, v32
	s_clause 0x1
	global_load_b128 v[40:43], v[22:23], off
	global_load_b128 v[48:51], v[28:29], off
	v_mad_co_u64_u32 v[34:35], null, 0x7d0, s19, v[13:14]
	v_mov_b32_e32 v13, v109
	v_mad_co_u64_u32 v[35:36], null, 0x8b0, s19, v[21:22]
	v_mov_b32_e32 v21, v111
	v_mov_b32_e32 v31, v12
	s_delay_alu instid0(VALU_DEP_4) | instskip(NEXT) | instid1(VALU_DEP_3)
	v_mad_co_u64_u32 v[36:37], null, 0x990, s19, v[13:14]
	v_mad_co_u64_u32 v[37:38], null, 0xa70, s19, v[21:22]
	v_mov_b32_e32 v21, v35
	s_delay_alu instid0(VALU_DEP_3) | instskip(NEXT) | instid1(VALU_DEP_3)
	v_mov_b32_e32 v109, v36
	v_mov_b32_e32 v111, v37
	s_wait_loadcnt 0x3
	v_mad_co_u64_u32 v[38:39], null, 0xb50, s19, v[15:16]
	s_delay_alu instid0(VALU_DEP_1)
	v_mov_b32_e32 v15, v38
	s_clause 0x5
	global_load_b128 v[44:47], v[30:31], off
	global_load_b128 v[36:39], v[33:34], off
	;; [unrolled: 1-line block ×6, first 2 shown]
	v_mov_b32_e32 v108, 0
.LBB0_14:
	s_wait_alu 0xfffe
	s_or_b32 exec_lo, exec_lo, s4
.LBB0_15:
	s_delay_alu instid0(SALU_CYCLE_1)
	s_or_b32 exec_lo, exec_lo, s1
	s_wait_loadcnt 0xb
	v_add_f64_e32 v[109:110], v[60:61], v[52:53]
	v_add_f64_e32 v[111:112], v[62:63], v[54:55]
	s_wait_loadcnt 0x5
	v_add_f64_e64 v[113:114], v[88:89], -v[84:85]
	s_mov_b32 s24, 0xe00740e9
	s_mov_b32 s18, 0x1ea71119
	;; [unrolled: 1-line block ×12, first 2 shown]
	s_wait_loadcnt 0x0
	v_add_f64_e64 v[120:121], v[62:63], -v[58:59]
	s_mov_b32 s34, 0x4267c47c
	s_mov_b32 s42, 0x42a4c3d2
	;; [unrolled: 1-line block ×18, first 2 shown]
	s_wait_alu 0xfffe
	s_mov_b32 s46, s34
	s_mov_b32 s30, s42
	;; [unrolled: 1-line block ×4, first 2 shown]
	v_add_f64_e32 v[109:110], v[64:65], v[109:110]
	v_add_f64_e32 v[111:112], v[66:67], v[111:112]
	s_mov_b32 s22, s40
	s_mov_b32 s20, s44
	v_mul_f64_e32 v[200:201], s[34:35], v[113:114]
	v_mul_f64_e32 v[180:181], s[20:21], v[113:114]
	;; [unrolled: 1-line block ×4, first 2 shown]
	s_mov_b32 s1, exec_lo
	v_add_f64_e32 v[109:110], v[68:69], v[109:110]
	v_add_f64_e32 v[111:112], v[70:71], v[111:112]
	s_delay_alu instid0(VALU_DEP_2) | instskip(NEXT) | instid1(VALU_DEP_2)
	v_add_f64_e32 v[109:110], v[72:73], v[109:110]
	v_add_f64_e32 v[111:112], v[74:75], v[111:112]
	s_delay_alu instid0(VALU_DEP_2) | instskip(NEXT) | instid1(VALU_DEP_2)
	v_add_f64_e32 v[109:110], v[76:77], v[109:110]
	v_add_f64_e32 v[111:112], v[78:79], v[111:112]
	s_delay_alu instid0(VALU_DEP_2) | instskip(NEXT) | instid1(VALU_DEP_2)
	v_add_f64_e32 v[116:117], v[88:89], v[109:110]
	v_add_f64_e32 v[118:119], v[90:91], v[111:112]
	;; [unrolled: 1-line block ×4, first 2 shown]
	v_add_f64_e64 v[88:89], v[90:91], -v[86:87]
	v_add_f64_e32 v[90:91], v[100:101], v[76:77]
	v_add_f64_e32 v[116:117], v[84:85], v[116:117]
	;; [unrolled: 1-line block ×4, first 2 shown]
	v_add_f64_e64 v[86:87], v[76:77], -v[100:101]
	v_add_f64_e64 v[76:77], v[78:79], -v[102:103]
	v_add_f64_e32 v[78:79], v[98:99], v[74:75]
	v_mul_f64_e32 v[174:175], s[10:11], v[90:91]
	v_mul_f64_e32 v[178:179], s[4:5], v[111:112]
	;; [unrolled: 1-line block ×8, first 2 shown]
	v_add_f64_e32 v[116:117], v[100:101], v[116:117]
	v_add_f64_e32 v[118:119], v[102:103], v[118:119]
	;; [unrolled: 1-line block ×3, first 2 shown]
	v_add_f64_e64 v[100:101], v[72:73], -v[96:97]
	v_add_f64_e64 v[72:73], v[74:75], -v[98:99]
	v_add_f64_e32 v[74:75], v[94:95], v[70:71]
	v_mul_f64_e32 v[176:177], s[22:23], v[86:87]
	v_mul_f64_e32 v[196:197], s[38:39], v[86:87]
	s_wait_alu 0xfffe
	v_mul_f64_e32 v[212:213], s[30:31], v[86:87]
	v_mul_f64_e32 v[228:229], s[44:45], v[86:87]
	v_add_f64_e32 v[116:117], v[96:97], v[116:117]
	v_add_f64_e32 v[118:119], v[98:99], v[118:119]
	;; [unrolled: 1-line block ×3, first 2 shown]
	v_add_f64_e64 v[96:97], v[68:69], -v[92:93]
	v_add_f64_e64 v[68:69], v[70:71], -v[94:95]
	;; [unrolled: 1-line block ×3, first 2 shown]
	v_mul_f64_e32 v[170:171], s[12:13], v[102:103]
	v_mul_f64_e32 v[172:173], s[26:27], v[100:101]
	;; [unrolled: 1-line block ×8, first 2 shown]
	v_add_f64_e32 v[116:117], v[92:93], v[116:117]
	v_add_f64_e32 v[118:119], v[94:95], v[118:119]
	;; [unrolled: 1-line block ×3, first 2 shown]
	v_add_f64_e64 v[94:95], v[64:65], -v[80:81]
	v_add_f64_e32 v[64:65], v[82:83], v[66:67]
	v_mul_f64_e32 v[166:167], s[14:15], v[98:99]
	v_mul_f64_e32 v[168:169], s[28:29], v[96:97]
	;; [unrolled: 1-line block ×6, first 2 shown]
	v_add_f64_e32 v[66:67], v[80:81], v[116:117]
	v_add_f64_e32 v[80:81], v[82:83], v[118:119]
	;; [unrolled: 1-line block ×3, first 2 shown]
	v_add_f64_e64 v[116:117], v[60:61], -v[56:57]
	v_add_f64_e32 v[118:119], v[58:59], v[62:63]
	v_mul_f64_e32 v[162:163], s[18:19], v[92:93]
	v_mul_f64_e32 v[164:165], s[30:31], v[94:95]
	;; [unrolled: 1-line block ×7, first 2 shown]
	v_add_f64_e32 v[60:61], v[56:57], v[66:67]
	v_add_f64_e32 v[62:63], v[58:59], v[80:81]
	v_mul_f64_e32 v[56:57], s[24:25], v[82:83]
	v_mul_f64_e32 v[58:59], s[18:19], v[82:83]
	;; [unrolled: 1-line block ×10, first 2 shown]
	v_fma_f64 v[124:125], v[120:121], s[34:35], v[56:57]
	v_fma_f64 v[56:57], v[120:121], s[46:47], v[56:57]
	;; [unrolled: 1-line block ×12, first 2 shown]
	v_mul_f64_e32 v[120:121], s[46:47], v[116:117]
	v_mul_f64_e32 v[116:117], s[20:21], v[116:117]
	v_fma_f64 v[146:147], v[118:119], s[18:19], v[136:137]
	v_fma_f64 v[148:149], v[118:119], s[14:15], v[138:139]
	;; [unrolled: 1-line block ×3, first 2 shown]
	v_fma_f64 v[136:137], v[118:119], s[18:19], -v[136:137]
	v_fma_f64 v[138:139], v[118:119], s[14:15], -v[138:139]
	;; [unrolled: 1-line block ×3, first 2 shown]
	v_fma_f64 v[152:153], v[118:119], s[10:11], v[142:143]
	v_fma_f64 v[142:143], v[118:119], s[10:11], -v[142:143]
	v_add_f64_e32 v[56:57], v[52:53], v[56:57]
	v_add_f64_e32 v[58:59], v[52:53], v[58:59]
	;; [unrolled: 1-line block ×9, first 2 shown]
	v_fma_f64 v[144:145], v[118:119], s[24:25], v[120:121]
	v_fma_f64 v[120:121], v[118:119], s[24:25], -v[120:121]
	v_fma_f64 v[154:155], v[118:119], s[4:5], v[116:117]
	v_fma_f64 v[116:117], v[118:119], s[4:5], -v[116:117]
	v_add_f64_e32 v[118:119], v[52:53], v[124:125]
	v_add_f64_e32 v[136:137], v[54:55], v[136:137]
	;; [unrolled: 1-line block ×6, first 2 shown]
	v_fma_f64 v[82:83], v[64:65], s[12:13], v[184:185]
	v_add_f64_e32 v[124:125], v[54:55], v[144:145]
	v_add_f64_e32 v[144:145], v[54:55], v[120:121]
	;; [unrolled: 1-line block ×7, first 2 shown]
	v_fma_f64 v[52:53], v[70:71], s[42:43], v[162:163]
	v_add_f64_e32 v[154:155], v[54:55], v[154:155]
	v_add_f64_e32 v[160:161], v[54:55], v[116:117]
	v_fma_f64 v[54:55], v[64:65], s[18:19], v[164:165]
	v_fma_f64 v[80:81], v[68:69], s[38:39], v[166:167]
	;; [unrolled: 1-line block ×3, first 2 shown]
	v_add_f64_e32 v[82:83], v[82:83], v[126:127]
	v_add_f64_e32 v[52:53], v[52:53], v[118:119]
	;; [unrolled: 1-line block ×3, first 2 shown]
	s_delay_alu instid0(VALU_DEP_2) | instskip(SKIP_1) | instid1(VALU_DEP_1)
	v_add_f64_e32 v[52:53], v[80:81], v[52:53]
	v_fma_f64 v[80:81], v[74:75], s[14:15], v[168:169]
	v_add_f64_e32 v[54:55], v[80:81], v[54:55]
	v_fma_f64 v[80:81], v[72:73], s[36:37], v[170:171]
	s_delay_alu instid0(VALU_DEP_1) | instskip(SKIP_1) | instid1(VALU_DEP_1)
	v_add_f64_e32 v[52:53], v[80:81], v[52:53]
	v_fma_f64 v[80:81], v[78:79], s[12:13], v[172:173]
	v_add_f64_e32 v[54:55], v[80:81], v[54:55]
	v_fma_f64 v[80:81], v[76:77], s[40:41], v[174:175]
	s_delay_alu instid0(VALU_DEP_1) | instskip(SKIP_1) | instid1(VALU_DEP_1)
	;; [unrolled: 5-line block ×3, first 2 shown]
	v_add_f64_e32 v[52:53], v[80:81], v[52:53]
	v_fma_f64 v[80:81], v[109:110], s[4:5], v[180:181]
	v_add_f64_e32 v[54:55], v[80:81], v[54:55]
	v_fma_f64 v[80:81], v[70:71], s[36:37], v[182:183]
	s_delay_alu instid0(VALU_DEP_1) | instskip(NEXT) | instid1(VALU_DEP_1)
	v_add_f64_e32 v[80:81], v[80:81], v[120:121]
	v_add_f64_e32 v[80:81], v[116:117], v[80:81]
	v_fma_f64 v[116:117], v[74:75], s[4:5], v[188:189]
	s_delay_alu instid0(VALU_DEP_1) | instskip(SKIP_1) | instid1(VALU_DEP_1)
	v_add_f64_e32 v[82:83], v[116:117], v[82:83]
	v_fma_f64 v[116:117], v[72:73], s[22:23], v[190:191]
	v_add_f64_e32 v[80:81], v[116:117], v[80:81]
	v_fma_f64 v[116:117], v[78:79], s[10:11], v[192:193]
	s_delay_alu instid0(VALU_DEP_1) | instskip(SKIP_1) | instid1(VALU_DEP_1)
	v_add_f64_e32 v[82:83], v[116:117], v[82:83]
	v_fma_f64 v[116:117], v[76:77], s[28:29], v[194:195]
	;; [unrolled: 5-line block ×4, first 2 shown]
	v_add_f64_e32 v[116:117], v[116:117], v[128:129]
	v_mul_f64_e32 v[128:129], s[20:21], v[94:95]
	s_delay_alu instid0(VALU_DEP_1) | instskip(NEXT) | instid1(VALU_DEP_1)
	v_fma_f64 v[118:119], v[64:65], s[4:5], v[128:129]
	v_add_f64_e32 v[118:119], v[118:119], v[146:147]
	v_mul_f64_e32 v[146:147], s[12:13], v[98:99]
	s_delay_alu instid0(VALU_DEP_1) | instskip(NEXT) | instid1(VALU_DEP_1)
	v_fma_f64 v[120:121], v[68:69], s[26:27], v[146:147]
	v_add_f64_e32 v[116:117], v[120:121], v[116:117]
	v_fma_f64 v[120:121], v[74:75], s[12:13], v[204:205]
	s_delay_alu instid0(VALU_DEP_1) | instskip(SKIP_1) | instid1(VALU_DEP_1)
	v_add_f64_e32 v[118:119], v[120:121], v[118:119]
	v_fma_f64 v[120:121], v[72:73], s[46:47], v[206:207]
	v_add_f64_e32 v[116:117], v[120:121], v[116:117]
	v_fma_f64 v[120:121], v[78:79], s[24:25], v[208:209]
	s_delay_alu instid0(VALU_DEP_1) | instskip(SKIP_1) | instid1(VALU_DEP_1)
	v_add_f64_e32 v[118:119], v[120:121], v[118:119]
	;; [unrolled: 5-line block ×4, first 2 shown]
	v_fma_f64 v[120:121], v[70:71], s[22:23], v[218:219]
	v_add_f64_e32 v[120:121], v[120:121], v[130:131]
	v_mul_f64_e32 v[130:131], s[40:41], v[94:95]
	s_delay_alu instid0(VALU_DEP_1) | instskip(NEXT) | instid1(VALU_DEP_1)
	v_fma_f64 v[122:123], v[64:65], s[10:11], v[130:131]
	v_add_f64_e32 v[122:123], v[122:123], v[148:149]
	v_mul_f64_e32 v[148:149], s[24:25], v[98:99]
	s_delay_alu instid0(VALU_DEP_1) | instskip(NEXT) | instid1(VALU_DEP_1)
	v_fma_f64 v[124:125], v[68:69], s[46:47], v[148:149]
	v_add_f64_e32 v[120:121], v[124:125], v[120:121]
	v_fma_f64 v[124:125], v[74:75], s[24:25], v[220:221]
	s_delay_alu instid0(VALU_DEP_1) | instskip(SKIP_1) | instid1(VALU_DEP_1)
	v_add_f64_e32 v[122:123], v[124:125], v[122:123]
	v_fma_f64 v[124:125], v[72:73], s[38:39], v[222:223]
	v_add_f64_e32 v[120:121], v[124:125], v[120:121]
	v_fma_f64 v[124:125], v[78:79], s[14:15], v[224:225]
	s_delay_alu instid0(VALU_DEP_1) | instskip(SKIP_1) | instid1(VALU_DEP_1)
	v_add_f64_e32 v[122:123], v[124:125], v[122:123]
	v_fma_f64 v[124:125], v[76:77], s[20:21], v[226:227]
	v_add_f64_e32 v[120:121], v[124:125], v[120:121]
	v_fma_f64 v[124:125], v[84:85], s[4:5], v[228:229]
	s_delay_alu instid0(VALU_DEP_1) | instskip(SKIP_1) | instid1(VALU_DEP_1)
	v_add_f64_e32 v[122:123], v[124:125], v[122:123]
	v_fma_f64 v[124:125], v[88:89], s[30:31], v[230:231]
	v_add_f64_e32 v[120:121], v[124:125], v[120:121]
	v_fma_f64 v[124:125], v[109:110], s[18:19], v[232:233]
	s_delay_alu instid0(VALU_DEP_1) | instskip(SKIP_1) | instid1(VALU_DEP_1)
	v_add_f64_e32 v[122:123], v[124:125], v[122:123]
	v_fma_f64 v[124:125], v[70:71], s[28:29], v[234:235]
	v_add_f64_e32 v[124:125], v[124:125], v[132:133]
	v_mul_f64_e32 v[132:133], s[38:39], v[94:95]
	v_mul_f64_e32 v[94:95], s[34:35], v[94:95]
	s_delay_alu instid0(VALU_DEP_2) | instskip(NEXT) | instid1(VALU_DEP_1)
	v_fma_f64 v[126:127], v[64:65], s[14:15], v[132:133]
	v_add_f64_e32 v[126:127], v[126:127], v[152:153]
	v_mul_f64_e32 v[152:153], s[18:19], v[98:99]
	v_mul_f64_e32 v[98:99], s[10:11], v[98:99]
	s_delay_alu instid0(VALU_DEP_2) | instskip(NEXT) | instid1(VALU_DEP_1)
	;; [unrolled: 5-line block ×5, first 2 shown]
	v_fma_f64 v[242:243], v[78:79], s[4:5], v[240:241]
	v_add_f64_e32 v[126:127], v[242:243], v[126:127]
	v_mul_f64_e32 v[242:243], s[24:25], v[90:91]
	s_delay_alu instid0(VALU_DEP_1) | instskip(NEXT) | instid1(VALU_DEP_1)
	v_fma_f64 v[244:245], v[76:77], s[46:47], v[242:243]
	v_add_f64_e32 v[124:125], v[244:245], v[124:125]
	v_mul_f64_e32 v[244:245], s[34:35], v[86:87]
	v_mul_f64_e32 v[86:87], s[26:27], v[86:87]
	s_delay_alu instid0(VALU_DEP_2) | instskip(NEXT) | instid1(VALU_DEP_1)
	v_fma_f64 v[246:247], v[84:85], s[24:25], v[244:245]
	v_add_f64_e32 v[126:127], v[246:247], v[126:127]
	v_mul_f64_e32 v[246:247], s[12:13], v[111:112]
	v_mul_f64_e32 v[111:112], s[14:15], v[111:112]
	s_delay_alu instid0(VALU_DEP_2) | instskip(NEXT) | instid1(VALU_DEP_1)
	;; [unrolled: 5-line block ×3, first 2 shown]
	v_fma_f64 v[250:251], v[109:110], s[12:13], v[248:249]
	v_add_f64_e32 v[126:127], v[250:251], v[126:127]
	v_mul_f64_e32 v[250:251], s[24:25], v[92:93]
	s_delay_alu instid0(VALU_DEP_1) | instskip(NEXT) | instid1(VALU_DEP_1)
	v_fma_f64 v[92:93], v[70:71], s[46:47], v[250:251]
	v_add_f64_e32 v[92:93], v[92:93], v[134:135]
	v_fma_f64 v[134:135], v[64:65], s[24:25], v[94:95]
	v_fma_f64 v[94:95], v[64:65], s[24:25], -v[94:95]
	s_delay_alu instid0(VALU_DEP_2) | instskip(SKIP_1) | instid1(VALU_DEP_3)
	v_add_f64_e32 v[134:135], v[134:135], v[154:155]
	v_fma_f64 v[154:155], v[68:69], s[40:41], v[98:99]
	v_add_f64_e32 v[94:95], v[94:95], v[160:161]
	v_fma_f64 v[98:99], v[68:69], s[22:23], v[98:99]
	s_delay_alu instid0(VALU_DEP_3) | instskip(SKIP_2) | instid1(VALU_DEP_2)
	v_add_f64_e32 v[92:93], v[154:155], v[92:93]
	v_fma_f64 v[154:155], v[74:75], s[10:11], v[96:97]
	v_fma_f64 v[96:97], v[74:75], s[10:11], -v[96:97]
	v_add_f64_e32 v[134:135], v[154:155], v[134:135]
	v_fma_f64 v[154:155], v[72:73], s[30:31], v[102:103]
	s_delay_alu instid0(VALU_DEP_3) | instskip(SKIP_2) | instid1(VALU_DEP_4)
	v_add_f64_e32 v[94:95], v[96:97], v[94:95]
	v_fma_f64 v[96:97], v[72:73], s[42:43], v[102:103]
	v_fma_f64 v[102:103], v[109:110], s[12:13], -v[248:249]
	v_add_f64_e32 v[92:93], v[154:155], v[92:93]
	v_fma_f64 v[154:155], v[78:79], s[18:19], v[100:101]
	s_delay_alu instid0(VALU_DEP_1) | instskip(SKIP_1) | instid1(VALU_DEP_1)
	v_add_f64_e32 v[134:135], v[154:155], v[134:135]
	v_mul_f64_e32 v[154:155], s[12:13], v[90:91]
	v_fma_f64 v[90:91], v[76:77], s[36:37], v[154:155]
	s_delay_alu instid0(VALU_DEP_1) | instskip(SKIP_2) | instid1(VALU_DEP_2)
	v_add_f64_e32 v[90:91], v[90:91], v[92:93]
	v_fma_f64 v[92:93], v[84:85], s[12:13], v[86:87]
	v_fma_f64 v[86:87], v[84:85], s[12:13], -v[86:87]
	v_add_f64_e32 v[92:93], v[92:93], v[134:135]
	v_fma_f64 v[134:135], v[88:89], s[28:29], v[111:112]
	s_delay_alu instid0(VALU_DEP_1) | instskip(SKIP_1) | instid1(VALU_DEP_1)
	v_add_f64_e32 v[90:91], v[134:135], v[90:91]
	v_fma_f64 v[134:135], v[109:110], s[14:15], v[113:114]
	v_add_f64_e32 v[92:93], v[134:135], v[92:93]
	v_fma_f64 v[134:135], v[70:71], s[34:35], v[250:251]
	s_delay_alu instid0(VALU_DEP_1) | instskip(NEXT) | instid1(VALU_DEP_1)
	v_add_f64_e32 v[134:135], v[134:135], v[158:159]
	v_add_f64_e32 v[98:99], v[98:99], v[134:135]
	s_delay_alu instid0(VALU_DEP_1) | instskip(SKIP_2) | instid1(VALU_DEP_2)
	v_add_f64_e32 v[96:97], v[96:97], v[98:99]
	v_fma_f64 v[98:99], v[78:79], s[18:19], -v[100:101]
	v_fma_f64 v[100:101], v[68:69], s[30:31], v[152:153]
	v_add_f64_e32 v[94:95], v[98:99], v[94:95]
	v_fma_f64 v[98:99], v[76:77], s[26:27], v[154:155]
	s_delay_alu instid0(VALU_DEP_2) | instskip(NEXT) | instid1(VALU_DEP_2)
	v_add_f64_e32 v[86:87], v[86:87], v[94:95]
	v_add_f64_e32 v[96:97], v[98:99], v[96:97]
	v_fma_f64 v[94:95], v[88:89], s[38:39], v[111:112]
	v_fma_f64 v[98:99], v[109:110], s[14:15], -v[113:114]
	v_fma_f64 v[111:112], v[68:69], s[34:35], v[148:149]
	v_fma_f64 v[113:114], v[109:110], s[18:19], -v[232:233]
	s_delay_alu instid0(VALU_DEP_4) | instskip(NEXT) | instid1(VALU_DEP_4)
	v_add_f64_e32 v[94:95], v[94:95], v[96:97]
	v_add_f64_e32 v[96:97], v[98:99], v[86:87]
	v_fma_f64 v[86:87], v[70:71], s[38:39], v[234:235]
	v_fma_f64 v[98:99], v[64:65], s[14:15], -v[132:133]
	s_delay_alu instid0(VALU_DEP_2) | instskip(NEXT) | instid1(VALU_DEP_2)
	v_add_f64_e32 v[86:87], v[86:87], v[156:157]
	v_add_f64_e32 v[98:99], v[98:99], v[142:143]
	s_delay_alu instid0(VALU_DEP_2) | instskip(SKIP_1) | instid1(VALU_DEP_1)
	v_add_f64_e32 v[86:87], v[100:101], v[86:87]
	v_fma_f64 v[100:101], v[74:75], s[18:19], -v[236:237]
	v_add_f64_e32 v[98:99], v[100:101], v[98:99]
	v_fma_f64 v[100:101], v[72:73], s[44:45], v[238:239]
	s_delay_alu instid0(VALU_DEP_1) | instskip(SKIP_1) | instid1(VALU_DEP_1)
	v_add_f64_e32 v[86:87], v[100:101], v[86:87]
	v_fma_f64 v[100:101], v[78:79], s[4:5], -v[240:241]
	v_add_f64_e32 v[98:99], v[100:101], v[98:99]
	v_fma_f64 v[100:101], v[76:77], s[34:35], v[242:243]
	s_delay_alu instid0(VALU_DEP_1) | instskip(SKIP_1) | instid1(VALU_DEP_1)
	v_add_f64_e32 v[86:87], v[100:101], v[86:87]
	v_fma_f64 v[100:101], v[84:85], s[24:25], -v[244:245]
	v_add_f64_e32 v[100:101], v[100:101], v[98:99]
	v_fma_f64 v[98:99], v[88:89], s[26:27], v[246:247]
	s_delay_alu instid0(VALU_DEP_2) | instskip(NEXT) | instid1(VALU_DEP_2)
	v_add_f64_e32 v[100:101], v[102:103], v[100:101]
	v_add_f64_e32 v[98:99], v[98:99], v[86:87]
	v_fma_f64 v[86:87], v[70:71], s[40:41], v[218:219]
	v_fma_f64 v[102:103], v[64:65], s[10:11], -v[130:131]
	v_fma_f64 v[130:131], v[109:110], s[10:11], -v[216:217]
	s_delay_alu instid0(VALU_DEP_3) | instskip(NEXT) | instid1(VALU_DEP_3)
	v_add_f64_e32 v[86:87], v[86:87], v[150:151]
	v_add_f64_e32 v[102:103], v[102:103], v[140:141]
	s_delay_alu instid0(VALU_DEP_2) | instskip(SKIP_1) | instid1(VALU_DEP_1)
	v_add_f64_e32 v[86:87], v[111:112], v[86:87]
	v_fma_f64 v[111:112], v[74:75], s[24:25], -v[220:221]
	v_add_f64_e32 v[102:103], v[111:112], v[102:103]
	v_fma_f64 v[111:112], v[72:73], s[28:29], v[222:223]
	s_delay_alu instid0(VALU_DEP_1) | instskip(SKIP_1) | instid1(VALU_DEP_1)
	v_add_f64_e32 v[86:87], v[111:112], v[86:87]
	v_fma_f64 v[111:112], v[78:79], s[14:15], -v[224:225]
	v_add_f64_e32 v[102:103], v[111:112], v[102:103]
	v_fma_f64 v[111:112], v[76:77], s[44:45], v[226:227]
	s_delay_alu instid0(VALU_DEP_1) | instskip(SKIP_1) | instid1(VALU_DEP_1)
	v_add_f64_e32 v[86:87], v[111:112], v[86:87]
	v_fma_f64 v[111:112], v[84:85], s[4:5], -v[228:229]
	v_add_f64_e32 v[102:103], v[111:112], v[102:103]
	v_fma_f64 v[111:112], v[88:89], s[42:43], v[230:231]
	s_delay_alu instid0(VALU_DEP_2) | instskip(NEXT) | instid1(VALU_DEP_2)
	v_add_f64_e32 v[113:114], v[113:114], v[102:103]
	v_add_f64_e32 v[111:112], v[111:112], v[86:87]
	v_fma_f64 v[86:87], v[70:71], s[20:21], v[202:203]
	v_fma_f64 v[102:103], v[68:69], s[36:37], v[146:147]
	s_delay_alu instid0(VALU_DEP_2) | instskip(SKIP_1) | instid1(VALU_DEP_2)
	v_add_f64_e32 v[66:67], v[86:87], v[66:67]
	v_fma_f64 v[86:87], v[64:65], s[4:5], -v[128:129]
	v_add_f64_e32 v[66:67], v[102:103], v[66:67]
	s_delay_alu instid0(VALU_DEP_2) | instskip(SKIP_1) | instid1(VALU_DEP_1)
	v_add_f64_e32 v[86:87], v[86:87], v[138:139]
	v_fma_f64 v[102:103], v[74:75], s[12:13], -v[204:205]
	v_add_f64_e32 v[86:87], v[102:103], v[86:87]
	v_fma_f64 v[102:103], v[72:73], s[34:35], v[206:207]
	s_delay_alu instid0(VALU_DEP_1) | instskip(SKIP_1) | instid1(VALU_DEP_1)
	v_add_f64_e32 v[66:67], v[102:103], v[66:67]
	v_fma_f64 v[102:103], v[78:79], s[24:25], -v[208:209]
	v_add_f64_e32 v[86:87], v[102:103], v[86:87]
	v_fma_f64 v[102:103], v[76:77], s[30:31], v[210:211]
	s_delay_alu instid0(VALU_DEP_1) | instskip(SKIP_1) | instid1(VALU_DEP_1)
	v_add_f64_e32 v[66:67], v[102:103], v[66:67]
	v_fma_f64 v[102:103], v[84:85], s[18:19], -v[212:213]
	v_add_f64_e32 v[86:87], v[102:103], v[86:87]
	v_fma_f64 v[102:103], v[88:89], s[22:23], v[214:215]
	s_delay_alu instid0(VALU_DEP_2) | instskip(NEXT) | instid1(VALU_DEP_2)
	v_add_f64_e32 v[130:131], v[130:131], v[86:87]
	v_add_f64_e32 v[128:129], v[102:103], v[66:67]
	v_fma_f64 v[66:67], v[70:71], s[26:27], v[182:183]
	v_fma_f64 v[86:87], v[68:69], s[20:21], v[186:187]
	v_fma_f64 v[102:103], v[109:110], s[24:25], -v[200:201]
	s_delay_alu instid0(VALU_DEP_3) | instskip(SKIP_2) | instid1(VALU_DEP_3)
	v_add_f64_e32 v[58:59], v[66:67], v[58:59]
	v_fma_f64 v[66:67], v[64:65], s[12:13], -v[184:185]
	v_fma_f64 v[64:65], v[64:65], s[18:19], -v[164:165]
	v_add_f64_e32 v[58:59], v[86:87], v[58:59]
	s_delay_alu instid0(VALU_DEP_3) | instskip(SKIP_1) | instid1(VALU_DEP_4)
	v_add_f64_e32 v[66:67], v[66:67], v[136:137]
	v_fma_f64 v[86:87], v[74:75], s[4:5], -v[188:189]
	v_add_f64_e32 v[64:65], v[64:65], v[144:145]
	s_delay_alu instid0(VALU_DEP_2) | instskip(SKIP_1) | instid1(VALU_DEP_1)
	v_add_f64_e32 v[66:67], v[86:87], v[66:67]
	v_fma_f64 v[86:87], v[72:73], s[40:41], v[190:191]
	v_add_f64_e32 v[58:59], v[86:87], v[58:59]
	v_fma_f64 v[86:87], v[78:79], s[10:11], -v[192:193]
	s_delay_alu instid0(VALU_DEP_1) | instskip(SKIP_1) | instid1(VALU_DEP_1)
	v_add_f64_e32 v[66:67], v[86:87], v[66:67]
	v_fma_f64 v[86:87], v[76:77], s[38:39], v[194:195]
	v_add_f64_e32 v[58:59], v[86:87], v[58:59]
	v_fma_f64 v[86:87], v[84:85], s[14:15], -v[196:197]
	s_delay_alu instid0(VALU_DEP_1) | instskip(SKIP_1) | instid1(VALU_DEP_2)
	v_add_f64_e32 v[66:67], v[86:87], v[66:67]
	v_fma_f64 v[86:87], v[88:89], s[34:35], v[198:199]
	v_add_f64_e32 v[134:135], v[102:103], v[66:67]
	s_delay_alu instid0(VALU_DEP_2) | instskip(SKIP_3) | instid1(VALU_DEP_3)
	v_add_f64_e32 v[132:133], v[86:87], v[58:59]
	v_fma_f64 v[58:59], v[70:71], s[30:31], v[162:163]
	v_fma_f64 v[66:67], v[68:69], s[28:29], v[166:167]
	;; [unrolled: 1-line block ×3, first 2 shown]
	v_add_f64_e32 v[56:57], v[58:59], v[56:57]
	v_fma_f64 v[58:59], v[74:75], s[14:15], -v[168:169]
	s_delay_alu instid0(VALU_DEP_2) | instskip(SKIP_1) | instid1(VALU_DEP_3)
	v_add_f64_e32 v[56:57], v[66:67], v[56:57]
	v_fma_f64 v[66:67], v[78:79], s[12:13], -v[172:173]
	v_add_f64_e32 v[58:59], v[58:59], v[64:65]
	v_fma_f64 v[64:65], v[76:77], s[22:23], v[174:175]
	s_delay_alu instid0(VALU_DEP_4) | instskip(SKIP_1) | instid1(VALU_DEP_4)
	v_add_f64_e32 v[56:57], v[68:69], v[56:57]
	v_fma_f64 v[68:69], v[84:85], s[10:11], -v[176:177]
	v_add_f64_e32 v[58:59], v[66:67], v[58:59]
	v_fma_f64 v[66:67], v[109:110], s[4:5], -v[180:181]
	s_delay_alu instid0(VALU_DEP_4) | instskip(SKIP_1) | instid1(VALU_DEP_4)
	v_add_f64_e32 v[56:57], v[64:65], v[56:57]
	v_fma_f64 v[64:65], v[88:89], s[20:21], v[178:179]
	v_add_f64_e32 v[58:59], v[68:69], v[58:59]
	s_delay_alu instid0(VALU_DEP_2) | instskip(NEXT) | instid1(VALU_DEP_2)
	v_add_f64_e32 v[64:65], v[64:65], v[56:57]
	v_add_f64_e32 v[66:67], v[66:67], v[58:59]
	v_and_b32_e32 v56, 3, v115
	v_mul_u32_u24_e32 v58, 0xd0, v108
	s_delay_alu instid0(VALU_DEP_2) | instskip(NEXT) | instid1(VALU_DEP_1)
	v_mul_u32_u24_e32 v57, 0xb6, v56
	v_lshlrev_b32_e32 v56, 4, v57
	s_delay_alu instid0(VALU_DEP_1)
	v_add3_u32 v58, 0, v58, v56
	ds_store_b128 v58, v[80:83] offset:32
	ds_store_b128 v58, v[116:119] offset:48
	;; [unrolled: 1-line block ×7, first 2 shown]
	ds_store_b128 v58, v[60:63]
	ds_store_b128 v58, v[98:101] offset:128
	ds_store_b128 v58, v[111:114] offset:144
	;; [unrolled: 1-line block ×5, first 2 shown]
	v_cmpx_eq_u32_e32 0, v108
	s_cbranch_execz .LBB0_17
; %bb.16:
	v_add_f64_e32 v[52:53], v[6:7], v[2:3]
	v_add_f64_e32 v[54:55], v[4:5], v[0:1]
	v_add_f64_e64 v[62:63], v[24:25], -v[32:33]
	v_add_f64_e64 v[64:65], v[26:27], -v[34:35]
	v_add_f64_e32 v[66:67], v[34:35], v[26:27]
	v_add_f64_e32 v[68:69], v[32:33], v[24:25]
	v_add_f64_e64 v[70:71], v[16:17], -v[28:29]
	v_add_f64_e64 v[72:73], v[18:19], -v[30:31]
	;; [unrolled: 4-line block ×3, first 2 shown]
	v_add_f64_e32 v[82:83], v[22:23], v[10:11]
	v_add_f64_e32 v[84:85], v[20:21], v[8:9]
	v_add_f64_e32 v[52:53], v[10:11], v[52:53]
	v_add_f64_e32 v[54:55], v[8:9], v[54:55]
	v_mul_f64_e32 v[133:134], s[40:41], v[62:63]
	v_mul_f64_e32 v[135:136], s[40:41], v[64:65]
	;; [unrolled: 1-line block ×11, first 2 shown]
	v_add_f64_e32 v[52:53], v[18:19], v[52:53]
	v_add_f64_e32 v[54:55], v[16:17], v[54:55]
	s_delay_alu instid0(VALU_DEP_2) | instskip(NEXT) | instid1(VALU_DEP_2)
	v_add_f64_e32 v[52:53], v[26:27], v[52:53]
	v_add_f64_e32 v[54:55], v[24:25], v[54:55]
	s_delay_alu instid0(VALU_DEP_2) | instskip(NEXT) | instid1(VALU_DEP_2)
	;; [unrolled: 3-line block ×3, first 2 shown]
	v_add_f64_e32 v[58:59], v[50:51], v[52:53]
	v_add_f64_e32 v[60:61], v[48:49], v[54:55]
	v_add_f64_e64 v[52:53], v[48:49], -v[44:45]
	v_add_f64_e64 v[54:55], v[50:51], -v[46:47]
	v_add_f64_e32 v[50:51], v[46:47], v[50:51]
	v_add_f64_e32 v[48:49], v[44:45], v[48:49]
	;; [unrolled: 1-line block ×4, first 2 shown]
	v_add_f64_e64 v[46:47], v[40:41], -v[36:37]
	v_add_f64_e64 v[44:45], v[42:43], -v[38:39]
	v_add_f64_e32 v[42:43], v[38:39], v[42:43]
	v_add_f64_e32 v[40:41], v[36:37], v[40:41]
	v_mul_f64_e32 v[117:118], s[38:39], v[52:53]
	v_mul_f64_e32 v[119:120], s[38:39], v[54:55]
	;; [unrolled: 1-line block ×8, first 2 shown]
	v_add_f64_e32 v[38:39], v[38:39], v[58:59]
	v_add_f64_e32 v[36:37], v[36:37], v[60:61]
	v_mul_f64_e32 v[137:138], s[38:39], v[46:47]
	v_mul_f64_e32 v[139:140], s[38:39], v[44:45]
	;; [unrolled: 1-line block ×4, first 2 shown]
	v_add_f64_e32 v[24:25], v[34:35], v[38:39]
	v_add_f64_e32 v[26:27], v[32:33], v[36:37]
	s_delay_alu instid0(VALU_DEP_2) | instskip(NEXT) | instid1(VALU_DEP_2)
	v_add_f64_e32 v[16:17], v[30:31], v[24:25]
	v_add_f64_e32 v[18:19], v[28:29], v[26:27]
	s_delay_alu instid0(VALU_DEP_2) | instskip(NEXT) | instid1(VALU_DEP_2)
	v_add_f64_e32 v[8:9], v[22:23], v[16:17]
	v_add_f64_e32 v[10:11], v[20:21], v[18:19]
	v_add_f64_e64 v[16:17], v[4:5], -v[12:13]
	v_add_f64_e64 v[18:19], v[6:7], -v[14:15]
	v_add_f64_e32 v[20:21], v[14:15], v[6:7]
	v_add_f64_e32 v[22:23], v[12:13], v[4:5]
	;; [unrolled: 1-line block ×4, first 2 shown]
	v_mul_f64_e32 v[8:9], s[20:21], v[16:17]
	v_mul_f64_e32 v[10:11], s[22:23], v[16:17]
	;; [unrolled: 1-line block ×10, first 2 shown]
	v_fma_f64 v[26:27], v[20:21], s[4:5], -v[8:9]
	v_fma_f64 v[8:9], v[20:21], s[4:5], v[8:9]
	v_fma_f64 v[28:29], v[20:21], s[10:11], -v[10:11]
	v_fma_f64 v[10:11], v[20:21], s[10:11], v[10:11]
	;; [unrolled: 2-line block ×6, first 2 shown]
	v_mul_f64_e32 v[20:21], s[20:21], v[18:19]
	v_mul_f64_e32 v[18:19], s[46:47], v[18:19]
	v_fma_f64 v[90:91], v[22:23], s[10:11], v[38:39]
	v_fma_f64 v[38:39], v[22:23], s[10:11], -v[38:39]
	v_fma_f64 v[92:93], v[22:23], s[12:13], v[58:59]
	v_fma_f64 v[58:59], v[22:23], s[12:13], -v[58:59]
	;; [unrolled: 2-line block ×4, first 2 shown]
	v_add_f64_e32 v[8:9], v[2:3], v[8:9]
	v_add_f64_e32 v[28:29], v[2:3], v[28:29]
	v_add_f64_e32 v[30:31], v[2:3], v[30:31]
	v_add_f64_e32 v[100:101], v[2:3], v[12:13]
	v_add_f64_e32 v[102:103], v[2:3], v[32:33]
	v_add_f64_e32 v[32:33], v[2:3], v[14:15]
	v_add_f64_e32 v[109:110], v[2:3], v[34:35]
	v_mul_f64_e32 v[14:15], s[22:23], v[70:71]
	v_mul_f64_e32 v[12:13], s[34:35], v[80:81]
	v_add_f64_e32 v[111:112], v[2:3], v[16:17]
	v_fma_f64 v[88:89], v[22:23], s[4:5], v[20:21]
	v_fma_f64 v[20:21], v[22:23], s[4:5], -v[20:21]
	v_fma_f64 v[98:99], v[22:23], s[24:25], v[18:19]
	v_fma_f64 v[18:19], v[22:23], s[24:25], -v[18:19]
	v_add_f64_e32 v[22:23], v[2:3], v[26:27]
	v_add_f64_e32 v[38:39], v[0:1], v[38:39]
	;; [unrolled: 1-line block ×10, first 2 shown]
	v_fma_f64 v[16:17], v[74:75], s[10:11], -v[14:15]
	v_add_f64_e32 v[26:27], v[0:1], v[88:89]
	v_add_f64_e32 v[88:89], v[0:1], v[90:91]
	;; [unrolled: 1-line block ×3, first 2 shown]
	v_mul_f64_e32 v[10:11], s[34:35], v[78:79]
	v_add_f64_e32 v[20:21], v[0:1], v[20:21]
	v_add_f64_e32 v[98:99], v[0:1], v[98:99]
	;; [unrolled: 1-line block ×3, first 2 shown]
	v_fma_f64 v[2:3], v[84:85], s[24:25], v[12:13]
	v_fma_f64 v[0:1], v[82:83], s[24:25], -v[10:11]
	v_fma_f64 v[10:11], v[82:83], s[24:25], v[10:11]
	s_delay_alu instid0(VALU_DEP_3) | instskip(NEXT) | instid1(VALU_DEP_3)
	v_add_f64_e32 v[2:3], v[2:3], v[26:27]
	v_add_f64_e32 v[0:1], v[0:1], v[22:23]
	s_delay_alu instid0(VALU_DEP_3)
	v_add_f64_e32 v[8:9], v[10:11], v[8:9]
	v_fma_f64 v[10:11], v[84:85], s[24:25], -v[12:13]
	v_fma_f64 v[12:13], v[74:75], s[10:11], v[14:15]
	v_fma_f64 v[14:15], v[48:49], s[14:15], -v[119:120]
	v_add_f64_e32 v[0:1], v[16:17], v[0:1]
	v_mul_f64_e32 v[16:17], s[22:23], v[72:73]
	v_add_f64_e32 v[10:11], v[10:11], v[20:21]
	v_add_f64_e32 v[8:9], v[12:13], v[8:9]
	v_mul_f64_e32 v[20:21], s[30:31], v[70:71]
	s_delay_alu instid0(VALU_DEP_4) | instskip(SKIP_2) | instid1(VALU_DEP_3)
	v_fma_f64 v[18:19], v[76:77], s[10:11], v[16:17]
	v_fma_f64 v[12:13], v[76:77], s[10:11], -v[16:17]
	v_mul_f64_e32 v[16:17], s[38:39], v[78:79]
	v_add_f64_e32 v[2:3], v[18:19], v[2:3]
	v_mul_f64_e32 v[18:19], s[42:43], v[62:63]
	s_delay_alu instid0(VALU_DEP_4) | instskip(NEXT) | instid1(VALU_DEP_2)
	v_add_f64_e32 v[10:11], v[12:13], v[10:11]
	v_fma_f64 v[22:23], v[66:67], s[18:19], -v[18:19]
	v_fma_f64 v[12:13], v[66:67], s[18:19], v[18:19]
	v_mul_f64_e32 v[18:19], s[38:39], v[80:81]
	s_delay_alu instid0(VALU_DEP_3) | instskip(SKIP_1) | instid1(VALU_DEP_4)
	v_add_f64_e32 v[0:1], v[22:23], v[0:1]
	v_mul_f64_e32 v[22:23], s[42:43], v[64:65]
	v_add_f64_e32 v[8:9], v[12:13], v[8:9]
	s_delay_alu instid0(VALU_DEP_2) | instskip(SKIP_3) | instid1(VALU_DEP_4)
	v_fma_f64 v[26:27], v[68:69], s[18:19], v[22:23]
	v_fma_f64 v[12:13], v[68:69], s[18:19], -v[22:23]
	v_fma_f64 v[22:23], v[74:75], s[18:19], -v[20:21]
	v_fma_f64 v[20:21], v[74:75], s[18:19], v[20:21]
	v_add_f64_e32 v[2:3], v[26:27], v[2:3]
	v_mul_f64_e32 v[26:27], s[26:27], v[46:47]
	v_add_f64_e32 v[10:11], v[12:13], v[10:11]
	s_delay_alu instid0(VALU_DEP_2) | instskip(SKIP_1) | instid1(VALU_DEP_2)
	v_fma_f64 v[36:37], v[42:43], s[12:13], -v[26:27]
	v_fma_f64 v[12:13], v[42:43], s[12:13], v[26:27]
	v_add_f64_e32 v[0:1], v[36:37], v[0:1]
	v_mul_f64_e32 v[36:37], s[26:27], v[44:45]
	s_delay_alu instid0(VALU_DEP_3) | instskip(NEXT) | instid1(VALU_DEP_2)
	v_add_f64_e32 v[8:9], v[12:13], v[8:9]
	v_fma_f64 v[12:13], v[40:41], s[12:13], -v[36:37]
	v_fma_f64 v[115:116], v[40:41], s[12:13], v[36:37]
	s_delay_alu instid0(VALU_DEP_2) | instskip(SKIP_1) | instid1(VALU_DEP_3)
	v_add_f64_e32 v[12:13], v[12:13], v[10:11]
	v_fma_f64 v[10:11], v[50:51], s[14:15], v[117:118]
	v_add_f64_e32 v[115:116], v[115:116], v[2:3]
	v_fma_f64 v[2:3], v[50:51], s[14:15], -v[117:118]
	v_mul_f64_e32 v[117:118], s[26:27], v[52:53]
	v_mul_f64_e32 v[52:53], s[20:21], v[52:53]
	v_add_f64_e32 v[10:11], v[10:11], v[8:9]
	v_add_f64_e32 v[8:9], v[14:15], v[12:13]
	v_fma_f64 v[12:13], v[82:83], s[14:15], -v[16:17]
	v_fma_f64 v[14:15], v[84:85], s[14:15], v[18:19]
	v_fma_f64 v[16:17], v[82:83], s[14:15], v[16:17]
	v_fma_f64 v[18:19], v[84:85], s[14:15], -v[18:19]
	v_add_f64_e32 v[2:3], v[2:3], v[0:1]
	v_fma_f64 v[0:1], v[48:49], s[14:15], v[119:120]
	v_mul_f64_e32 v[119:120], s[26:27], v[54:55]
	v_mul_f64_e32 v[54:55], s[20:21], v[54:55]
	v_add_f64_e32 v[12:13], v[12:13], v[28:29]
	v_add_f64_e32 v[14:15], v[14:15], v[88:89]
	;; [unrolled: 1-line block ×4, first 2 shown]
	v_mul_f64_e32 v[38:39], s[40:41], v[80:81]
	v_add_f64_e32 v[0:1], v[0:1], v[115:116]
	v_mul_f64_e32 v[90:91], s[34:35], v[72:73]
	v_mul_f64_e32 v[80:81], s[30:31], v[80:81]
	v_add_f64_e32 v[12:13], v[22:23], v[12:13]
	v_mul_f64_e32 v[22:23], s[30:31], v[72:73]
	v_add_f64_e32 v[16:17], v[20:21], v[16:17]
	v_mul_f64_e32 v[72:73], s[28:29], v[72:73]
	s_delay_alu instid0(VALU_DEP_3) | instskip(SKIP_2) | instid1(VALU_DEP_3)
	v_fma_f64 v[26:27], v[76:77], s[18:19], v[22:23]
	v_fma_f64 v[20:21], v[76:77], s[18:19], -v[22:23]
	v_fma_f64 v[22:23], v[48:49], s[12:13], -v[119:120]
	v_add_f64_e32 v[14:15], v[26:27], v[14:15]
	v_mul_f64_e32 v[26:27], s[44:45], v[62:63]
	s_delay_alu instid0(VALU_DEP_4) | instskip(NEXT) | instid1(VALU_DEP_2)
	v_add_f64_e32 v[18:19], v[20:21], v[18:19]
	v_fma_f64 v[28:29], v[66:67], s[4:5], -v[26:27]
	v_fma_f64 v[20:21], v[66:67], s[4:5], v[26:27]
	s_delay_alu instid0(VALU_DEP_2) | instskip(SKIP_1) | instid1(VALU_DEP_3)
	v_add_f64_e32 v[12:13], v[28:29], v[12:13]
	v_mul_f64_e32 v[28:29], s[44:45], v[64:65]
	v_add_f64_e32 v[16:17], v[20:21], v[16:17]
	s_delay_alu instid0(VALU_DEP_2) | instskip(SKIP_2) | instid1(VALU_DEP_3)
	v_fma_f64 v[36:37], v[68:69], s[4:5], v[28:29]
	v_fma_f64 v[20:21], v[68:69], s[4:5], -v[28:29]
	v_fma_f64 v[28:29], v[74:75], s[4:5], v[129:130]
	v_add_f64_e32 v[14:15], v[36:37], v[14:15]
	v_mul_f64_e32 v[36:37], s[34:35], v[46:47]
	s_delay_alu instid0(VALU_DEP_4) | instskip(NEXT) | instid1(VALU_DEP_2)
	v_add_f64_e32 v[18:19], v[20:21], v[18:19]
	v_fma_f64 v[88:89], v[42:43], s[24:25], -v[36:37]
	v_fma_f64 v[20:21], v[42:43], s[24:25], v[36:37]
	v_mul_f64_e32 v[36:37], s[40:41], v[78:79]
	v_mul_f64_e32 v[78:79], s[30:31], v[78:79]
	s_delay_alu instid0(VALU_DEP_4) | instskip(SKIP_2) | instid1(VALU_DEP_2)
	v_add_f64_e32 v[12:13], v[88:89], v[12:13]
	v_mul_f64_e32 v[88:89], s[34:35], v[44:45]
	v_add_f64_e32 v[16:17], v[20:21], v[16:17]
	v_fma_f64 v[20:21], v[40:41], s[24:25], -v[88:89]
	v_fma_f64 v[115:116], v[40:41], s[24:25], v[88:89]
	v_mul_f64_e32 v[88:89], s[34:35], v[70:71]
	s_delay_alu instid0(VALU_DEP_3) | instskip(SKIP_1) | instid1(VALU_DEP_4)
	v_add_f64_e32 v[20:21], v[20:21], v[18:19]
	v_fma_f64 v[18:19], v[50:51], s[12:13], v[117:118]
	v_add_f64_e32 v[115:116], v[115:116], v[14:15]
	v_fma_f64 v[14:15], v[50:51], s[12:13], -v[117:118]
	v_fma_f64 v[26:27], v[74:75], s[24:25], -v[88:89]
	v_mul_f64_e32 v[117:118], s[44:45], v[46:47]
	v_add_f64_e32 v[18:19], v[18:19], v[16:17]
	v_add_f64_e32 v[16:17], v[22:23], v[20:21]
	v_fma_f64 v[20:21], v[82:83], s[10:11], -v[36:37]
	v_fma_f64 v[22:23], v[84:85], s[10:11], v[38:39]
	v_add_f64_e32 v[14:15], v[14:15], v[12:13]
	v_fma_f64 v[12:13], v[48:49], s[12:13], v[119:120]
	v_mul_f64_e32 v[119:120], s[44:45], v[44:45]
	v_add_f64_e32 v[20:21], v[20:21], v[30:31]
	v_add_f64_e32 v[22:23], v[22:23], v[92:93]
	v_mul_f64_e32 v[92:93], s[28:29], v[62:63]
	v_add_f64_e32 v[12:13], v[12:13], v[115:116]
	v_mul_f64_e32 v[115:116], s[28:29], v[64:65]
	v_fma_f64 v[30:31], v[84:85], s[4:5], -v[147:148]
	v_mul_f64_e32 v[62:63], s[26:27], v[62:63]
	v_mul_f64_e32 v[64:65], s[26:27], v[64:65]
	v_add_f64_e32 v[20:21], v[26:27], v[20:21]
	v_fma_f64 v[26:27], v[76:77], s[24:25], v[90:91]
	v_add_f64_e32 v[30:31], v[30:31], v[60:61]
	v_mul_f64_e32 v[60:61], s[36:37], v[70:71]
	v_mul_f64_e32 v[70:71], s[28:29], v[70:71]
	s_delay_alu instid0(VALU_DEP_4) | instskip(SKIP_1) | instid1(VALU_DEP_1)
	v_add_f64_e32 v[22:23], v[26:27], v[22:23]
	v_fma_f64 v[26:27], v[66:67], s[14:15], -v[92:93]
	v_add_f64_e32 v[20:21], v[26:27], v[20:21]
	v_fma_f64 v[26:27], v[68:69], s[14:15], v[115:116]
	s_delay_alu instid0(VALU_DEP_1) | instskip(SKIP_1) | instid1(VALU_DEP_1)
	v_add_f64_e32 v[22:23], v[26:27], v[22:23]
	v_fma_f64 v[26:27], v[42:43], s[4:5], -v[117:118]
	v_add_f64_e32 v[20:21], v[26:27], v[20:21]
	v_fma_f64 v[26:27], v[40:41], s[4:5], v[119:120]
	s_delay_alu instid0(VALU_DEP_1) | instskip(SKIP_1) | instid1(VALU_DEP_1)
	;; [unrolled: 5-line block ×3, first 2 shown]
	v_add_f64_e32 v[20:21], v[20:21], v[26:27]
	v_fma_f64 v[26:27], v[82:83], s[12:13], v[125:126]
	v_add_f64_e32 v[24:25], v[26:27], v[24:25]
	v_fma_f64 v[26:27], v[84:85], s[12:13], -v[127:128]
	s_delay_alu instid0(VALU_DEP_2) | instskip(NEXT) | instid1(VALU_DEP_2)
	v_add_f64_e32 v[24:25], v[28:29], v[24:25]
	v_add_f64_e32 v[26:27], v[26:27], v[34:35]
	v_fma_f64 v[28:29], v[76:77], s[4:5], -v[131:132]
	v_fma_f64 v[34:35], v[84:85], s[10:11], -v[38:39]
	v_fma_f64 v[38:39], v[48:49], s[18:19], -v[123:124]
	s_delay_alu instid0(VALU_DEP_3) | instskip(SKIP_1) | instid1(VALU_DEP_4)
	v_add_f64_e32 v[26:27], v[28:29], v[26:27]
	v_fma_f64 v[28:29], v[66:67], s[10:11], v[133:134]
	v_add_f64_e32 v[34:35], v[34:35], v[58:59]
	v_fma_f64 v[58:59], v[74:75], s[12:13], -v[60:61]
	s_delay_alu instid0(VALU_DEP_3) | instskip(SKIP_1) | instid1(VALU_DEP_1)
	v_add_f64_e32 v[24:25], v[28:29], v[24:25]
	v_fma_f64 v[28:29], v[68:69], s[10:11], -v[135:136]
	v_add_f64_e32 v[26:27], v[28:29], v[26:27]
	v_fma_f64 v[28:29], v[42:43], s[14:15], v[137:138]
	s_delay_alu instid0(VALU_DEP_1) | instskip(SKIP_1) | instid1(VALU_DEP_1)
	v_add_f64_e32 v[24:25], v[28:29], v[24:25]
	v_fma_f64 v[28:29], v[40:41], s[14:15], -v[139:140]
	v_add_f64_e32 v[28:29], v[28:29], v[26:27]
	v_fma_f64 v[26:27], v[50:51], s[24:25], v[141:142]
	s_delay_alu instid0(VALU_DEP_1) | instskip(SKIP_1) | instid1(VALU_DEP_1)
	v_add_f64_e32 v[26:27], v[26:27], v[24:25]
	v_fma_f64 v[24:25], v[48:49], s[24:25], -v[143:144]
	v_add_f64_e32 v[24:25], v[24:25], v[28:29]
	v_fma_f64 v[28:29], v[82:83], s[4:5], v[145:146]
	s_delay_alu instid0(VALU_DEP_1) | instskip(SKIP_2) | instid1(VALU_DEP_2)
	v_add_f64_e32 v[28:29], v[28:29], v[32:33]
	v_fma_f64 v[32:33], v[74:75], s[12:13], v[60:61]
	v_fma_f64 v[60:61], v[48:49], s[10:11], v[161:162]
	v_add_f64_e32 v[28:29], v[32:33], v[28:29]
	v_fma_f64 v[32:33], v[76:77], s[12:13], -v[149:150]
	s_delay_alu instid0(VALU_DEP_1) | instskip(SKIP_1) | instid1(VALU_DEP_1)
	v_add_f64_e32 v[30:31], v[32:33], v[30:31]
	v_fma_f64 v[32:33], v[66:67], s[24:25], v[151:152]
	v_add_f64_e32 v[28:29], v[32:33], v[28:29]
	v_fma_f64 v[32:33], v[68:69], s[24:25], -v[153:154]
	s_delay_alu instid0(VALU_DEP_1) | instskip(SKIP_1) | instid1(VALU_DEP_1)
	v_add_f64_e32 v[30:31], v[32:33], v[30:31]
	;; [unrolled: 5-line block ×3, first 2 shown]
	v_fma_f64 v[30:31], v[50:51], s[10:11], v[159:160]
	v_add_f64_e32 v[30:31], v[30:31], v[28:29]
	v_fma_f64 v[28:29], v[48:49], s[10:11], -v[161:162]
	s_delay_alu instid0(VALU_DEP_1) | instskip(SKIP_3) | instid1(VALU_DEP_3)
	v_add_f64_e32 v[28:29], v[28:29], v[32:33]
	v_fma_f64 v[32:33], v[82:83], s[10:11], v[36:37]
	v_fma_f64 v[36:37], v[74:75], s[24:25], v[88:89]
	v_fma_f64 v[88:89], v[74:75], s[4:5], -v[129:130]
	v_add_f64_e32 v[32:33], v[32:33], v[100:101]
	s_delay_alu instid0(VALU_DEP_1) | instskip(SKIP_2) | instid1(VALU_DEP_2)
	v_add_f64_e32 v[32:33], v[36:37], v[32:33]
	v_fma_f64 v[36:37], v[76:77], s[24:25], -v[90:91]
	v_fma_f64 v[90:91], v[48:49], s[24:25], v[143:144]
	v_add_f64_e32 v[34:35], v[36:37], v[34:35]
	v_fma_f64 v[36:37], v[66:67], s[14:15], v[92:93]
	v_fma_f64 v[92:93], v[74:75], s[14:15], v[70:71]
	v_fma_f64 v[70:71], v[74:75], s[14:15], -v[70:71]
	s_delay_alu instid0(VALU_DEP_3) | instskip(SKIP_1) | instid1(VALU_DEP_1)
	v_add_f64_e32 v[32:33], v[36:37], v[32:33]
	v_fma_f64 v[36:37], v[68:69], s[14:15], -v[115:116]
	v_add_f64_e32 v[34:35], v[36:37], v[34:35]
	v_fma_f64 v[36:37], v[42:43], s[4:5], v[117:118]
	s_delay_alu instid0(VALU_DEP_1) | instskip(SKIP_1) | instid1(VALU_DEP_1)
	v_add_f64_e32 v[32:33], v[36:37], v[32:33]
	v_fma_f64 v[36:37], v[40:41], s[4:5], -v[119:120]
	v_add_f64_e32 v[36:37], v[36:37], v[34:35]
	v_fma_f64 v[34:35], v[50:51], s[18:19], v[121:122]
	s_delay_alu instid0(VALU_DEP_1) | instskip(NEXT) | instid1(VALU_DEP_3)
	v_add_f64_e32 v[34:35], v[34:35], v[32:33]
	v_add_f64_e32 v[32:33], v[38:39], v[36:37]
	v_fma_f64 v[36:37], v[82:83], s[4:5], -v[145:146]
	v_fma_f64 v[38:39], v[84:85], s[4:5], v[147:148]
	s_delay_alu instid0(VALU_DEP_2) | instskip(NEXT) | instid1(VALU_DEP_2)
	v_add_f64_e32 v[36:37], v[36:37], v[102:103]
	v_add_f64_e32 v[38:39], v[38:39], v[94:95]
	s_delay_alu instid0(VALU_DEP_2) | instskip(SKIP_1) | instid1(VALU_DEP_1)
	v_add_f64_e32 v[36:37], v[58:59], v[36:37]
	v_fma_f64 v[58:59], v[76:77], s[12:13], v[149:150]
	v_add_f64_e32 v[38:39], v[58:59], v[38:39]
	v_fma_f64 v[58:59], v[66:67], s[24:25], -v[151:152]
	s_delay_alu instid0(VALU_DEP_1) | instskip(SKIP_1) | instid1(VALU_DEP_1)
	v_add_f64_e32 v[36:37], v[58:59], v[36:37]
	v_fma_f64 v[58:59], v[68:69], s[24:25], v[153:154]
	v_add_f64_e32 v[38:39], v[58:59], v[38:39]
	v_fma_f64 v[58:59], v[42:43], s[18:19], -v[155:156]
	s_delay_alu instid0(VALU_DEP_1) | instskip(SKIP_1) | instid1(VALU_DEP_1)
	v_add_f64_e32 v[36:37], v[58:59], v[36:37]
	v_fma_f64 v[58:59], v[40:41], s[18:19], v[157:158]
	v_add_f64_e32 v[58:59], v[58:59], v[38:39]
	v_fma_f64 v[38:39], v[50:51], s[10:11], -v[159:160]
	s_delay_alu instid0(VALU_DEP_1) | instskip(NEXT) | instid1(VALU_DEP_3)
	v_add_f64_e32 v[38:39], v[38:39], v[36:37]
	v_add_f64_e32 v[36:37], v[60:61], v[58:59]
	v_fma_f64 v[58:59], v[82:83], s[12:13], -v[125:126]
	v_fma_f64 v[60:61], v[84:85], s[12:13], v[127:128]
	s_delay_alu instid0(VALU_DEP_2) | instskip(NEXT) | instid1(VALU_DEP_2)
	v_add_f64_e32 v[58:59], v[58:59], v[109:110]
	v_add_f64_e32 v[60:61], v[60:61], v[96:97]
	s_delay_alu instid0(VALU_DEP_2) | instskip(SKIP_1) | instid1(VALU_DEP_1)
	v_add_f64_e32 v[58:59], v[88:89], v[58:59]
	v_fma_f64 v[88:89], v[76:77], s[4:5], v[131:132]
	v_add_f64_e32 v[60:61], v[88:89], v[60:61]
	v_fma_f64 v[88:89], v[66:67], s[10:11], -v[133:134]
	s_delay_alu instid0(VALU_DEP_1) | instskip(SKIP_1) | instid1(VALU_DEP_1)
	v_add_f64_e32 v[58:59], v[88:89], v[58:59]
	v_fma_f64 v[88:89], v[68:69], s[10:11], v[135:136]
	v_add_f64_e32 v[60:61], v[88:89], v[60:61]
	v_fma_f64 v[88:89], v[42:43], s[14:15], -v[137:138]
	s_delay_alu instid0(VALU_DEP_1) | instskip(SKIP_1) | instid1(VALU_DEP_1)
	v_add_f64_e32 v[58:59], v[88:89], v[58:59]
	v_fma_f64 v[88:89], v[40:41], s[14:15], v[139:140]
	v_add_f64_e32 v[88:89], v[88:89], v[60:61]
	v_fma_f64 v[60:61], v[50:51], s[24:25], -v[141:142]
	s_delay_alu instid0(VALU_DEP_1) | instskip(NEXT) | instid1(VALU_DEP_3)
	v_add_f64_e32 v[60:61], v[60:61], v[58:59]
	v_add_f64_e32 v[58:59], v[90:91], v[88:89]
	v_fma_f64 v[88:89], v[82:83], s[18:19], v[78:79]
	v_fma_f64 v[90:91], v[84:85], s[18:19], -v[80:81]
	v_fma_f64 v[78:79], v[82:83], s[18:19], -v[78:79]
	v_fma_f64 v[80:81], v[84:85], s[18:19], v[80:81]
	s_delay_alu instid0(VALU_DEP_4) | instskip(NEXT) | instid1(VALU_DEP_4)
	v_add_f64_e32 v[88:89], v[88:89], v[111:112]
	v_add_f64_e32 v[90:91], v[90:91], v[113:114]
	s_delay_alu instid0(VALU_DEP_4) | instskip(NEXT) | instid1(VALU_DEP_3)
	v_add_f64_e32 v[74:75], v[78:79], v[86:87]
	v_add_f64_e32 v[88:89], v[92:93], v[88:89]
	v_fma_f64 v[92:93], v[76:77], s[14:15], -v[72:73]
	v_fma_f64 v[72:73], v[76:77], s[14:15], v[72:73]
	v_add_f64_e32 v[76:77], v[80:81], v[98:99]
	s_delay_alu instid0(VALU_DEP_3) | instskip(SKIP_3) | instid1(VALU_DEP_3)
	v_add_f64_e32 v[90:91], v[92:93], v[90:91]
	v_fma_f64 v[92:93], v[66:67], s[12:13], v[62:63]
	v_fma_f64 v[62:63], v[66:67], s[12:13], -v[62:63]
	v_add_f64_e32 v[66:67], v[70:71], v[74:75]
	v_add_f64_e32 v[88:89], v[92:93], v[88:89]
	v_fma_f64 v[92:93], v[68:69], s[12:13], -v[64:65]
	v_fma_f64 v[64:65], v[68:69], s[12:13], v[64:65]
	v_add_f64_e32 v[68:69], v[72:73], v[76:77]
	v_add_f64_e32 v[62:63], v[62:63], v[66:67]
	s_delay_alu instid0(VALU_DEP_4) | instskip(SKIP_1) | instid1(VALU_DEP_4)
	v_add_f64_e32 v[90:91], v[92:93], v[90:91]
	v_mul_f64_e32 v[92:93], s[22:23], v[46:47]
	v_add_f64_e32 v[64:65], v[64:65], v[68:69]
	s_delay_alu instid0(VALU_DEP_2) | instskip(SKIP_1) | instid1(VALU_DEP_2)
	v_fma_f64 v[46:47], v[42:43], s[10:11], v[92:93]
	v_fma_f64 v[42:43], v[42:43], s[10:11], -v[92:93]
	v_add_f64_e32 v[46:47], v[46:47], v[88:89]
	v_mul_f64_e32 v[88:89], s[22:23], v[44:45]
	s_delay_alu instid0(VALU_DEP_3) | instskip(NEXT) | instid1(VALU_DEP_2)
	v_add_f64_e32 v[42:43], v[42:43], v[62:63]
	v_fma_f64 v[44:45], v[40:41], s[10:11], -v[88:89]
	v_fma_f64 v[40:41], v[40:41], s[10:11], v[88:89]
	s_delay_alu instid0(VALU_DEP_2) | instskip(SKIP_2) | instid1(VALU_DEP_4)
	v_add_f64_e32 v[44:45], v[44:45], v[90:91]
	v_fma_f64 v[90:91], v[50:51], s[4:5], v[52:53]
	v_fma_f64 v[50:51], v[50:51], s[4:5], -v[52:53]
	v_add_f64_e32 v[40:41], v[40:41], v[64:65]
	s_delay_alu instid0(VALU_DEP_3) | instskip(SKIP_3) | instid1(VALU_DEP_3)
	v_add_f64_e32 v[46:47], v[90:91], v[46:47]
	v_fma_f64 v[90:91], v[48:49], s[4:5], -v[54:55]
	v_fma_f64 v[48:49], v[48:49], s[4:5], v[54:55]
	v_add_f64_e32 v[42:43], v[50:51], v[42:43]
	v_add_f64_e32 v[44:45], v[90:91], v[44:45]
	s_delay_alu instid0(VALU_DEP_3)
	v_add_f64_e32 v[40:41], v[48:49], v[40:41]
	v_lshl_add_u32 v48, v57, 4, 0
	ds_store_b128 v48, v[24:27] offset:2736
	ds_store_b128 v48, v[28:31] offset:2752
	;; [unrolled: 1-line block ×13, first 2 shown]
.LBB0_17:
	s_or_b32 exec_lo, exec_lo, s1
	v_add_nc_u16 v2, v108, 26
	v_mov_b32_e32 v109, 0
	v_add_nc_u16 v3, v108, 39
	v_add_nc_u16 v5, v108, 52
	;; [unrolled: 1-line block ×3, first 2 shown]
	v_and_b32_e32 v4, 0xff, v2
	v_add_nc_u16 v8, v108, 0x4e
	v_and_b32_e32 v7, 0xff, v3
	v_and_b32_e32 v9, 0xff, v5
	;; [unrolled: 1-line block ×3, first 2 shown]
	v_mul_lo_u16 v4, 0x4f, v4
	v_and_b32_e32 v11, 0xff, v8
	v_mul_lo_u16 v7, 0x4f, v7
	v_mul_lo_u16 v9, 0x4f, v9
	v_mul_lo_u16 v10, 0x4f, v10
	v_lshrrev_b16 v4, 10, v4
	v_mul_lo_u16 v11, 0x4f, v11
	v_lshrrev_b16 v7, 10, v7
	v_lshrrev_b16 v9, 10, v9
	;; [unrolled: 1-line block ×3, first 2 shown]
	v_mul_lo_u16 v4, v4, 13
	v_lshlrev_b64_e32 v[0:1], 4, v[108:109]
	global_wb scope:SCOPE_SE
	s_wait_dscnt 0x0
	v_mul_lo_u16 v9, v9, 13
	v_mul_lo_u16 v10, v10, 13
	v_sub_nc_u16 v2, v2, v4
	v_mul_lo_u16 v4, v7, 13
	v_lshrrev_b16 v7, 10, v11
	v_add_co_u32 v0, s0, s8, v0
	s_delay_alu instid0(VALU_DEP_4) | instskip(NEXT) | instid1(VALU_DEP_4)
	v_and_b32_e32 v2, 0xff, v2
	v_sub_nc_u16 v3, v3, v4
	s_delay_alu instid0(VALU_DEP_4)
	v_mul_lo_u16 v4, v7, 13
	v_sub_nc_u16 v5, v5, v9
	s_wait_alu 0xf1ff
	v_add_co_ci_u32_e64 v1, s0, s9, v1, s0
	v_sub_nc_u16 v6, v6, v10
	v_and_b32_e32 v7, 0xff, v3
	v_sub_nc_u16 v4, v8, v4
	v_lshlrev_b32_e32 v75, 4, v2
	v_and_b32_e32 v5, 0xff, v5
	s_wait_kmcnt 0x0
	s_barrier_signal -1
	s_barrier_wait -1
	global_inv scope:SCOPE_SE
	global_load_b128 v[0:3], v[0:1], off
	v_and_b32_e32 v8, 0xff, v6
	v_lshlrev_b32_e32 v76, 4, v7
	v_and_b32_e32 v12, 0xff, v4
	v_lshlrev_b32_e32 v77, 4, v5
	global_load_b128 v[4:7], v75, s[8:9]
	v_lshlrev_b32_e32 v78, 4, v8
	global_load_b128 v[8:11], v76, s[8:9]
	v_lshlrev_b32_e32 v79, 4, v12
	s_clause 0x2
	global_load_b128 v[14:17], v77, s[8:9]
	global_load_b128 v[18:21], v78, s[8:9]
	;; [unrolled: 1-line block ×3, first 2 shown]
	v_lshlrev_b32_e32 v13, 4, v108
	v_add_nc_u32_e32 v80, 0, v56
	s_delay_alu instid0(VALU_DEP_2)
	v_add3_u32 v12, 0, v13, v56
	ds_load_b128 v[26:29], v12 offset:1456
	ds_load_b128 v[30:33], v12 offset:1664
	;; [unrolled: 1-line block ×8, first 2 shown]
	v_add_nc_u32_e32 v13, v80, v13
	s_wait_loadcnt_dscnt 0x507
	v_mul_f64_e32 v[54:55], v[28:29], v[2:3]
	v_mul_f64_e32 v[61:62], v[26:27], v[2:3]
	s_wait_dscnt 0x6
	v_mul_f64_e32 v[63:64], v[32:33], v[2:3]
	v_mul_f64_e32 v[2:3], v[30:31], v[2:3]
	s_wait_loadcnt_dscnt 0x405
	v_mul_f64_e32 v[65:66], v[36:37], v[6:7]
	v_mul_f64_e32 v[6:7], v[34:35], v[6:7]
	s_wait_loadcnt_dscnt 0x304
	;; [unrolled: 3-line block ×5, first 2 shown]
	v_mul_f64_e32 v[73:74], v[52:53], v[24:25]
	v_mul_f64_e32 v[24:25], v[50:51], v[24:25]
	v_fma_f64 v[26:27], v[26:27], v[0:1], -v[54:55]
	v_fma_f64 v[28:29], v[28:29], v[0:1], v[61:62]
	v_fma_f64 v[30:31], v[30:31], v[0:1], -v[63:64]
	v_fma_f64 v[32:33], v[32:33], v[0:1], v[2:3]
	v_add_nc_u32_e32 v61, v80, v78
	v_fma_f64 v[34:35], v[34:35], v[4:5], -v[65:66]
	v_fma_f64 v[36:37], v[36:37], v[4:5], v[6:7]
	v_fma_f64 v[38:39], v[38:39], v[8:9], -v[67:68]
	v_fma_f64 v[40:41], v[40:41], v[8:9], v[10:11]
	;; [unrolled: 2-line block ×5, first 2 shown]
	ds_load_b128 v[0:3], v13
	ds_load_b128 v[4:7], v12 offset:208
	ds_load_b128 v[8:11], v12 offset:416
	;; [unrolled: 1-line block ×5, first 2 shown]
	global_wb scope:SCOPE_SE
	s_wait_dscnt 0x0
	s_barrier_signal -1
	s_barrier_wait -1
	global_inv scope:SCOPE_SE
	v_add_nc_u32_e32 v62, v80, v79
	v_add_f64_e64 v[26:27], v[0:1], -v[26:27]
	v_add_f64_e64 v[28:29], v[2:3], -v[28:29]
	v_add_f64_e64 v[30:31], v[4:5], -v[30:31]
	v_add_f64_e64 v[32:33], v[6:7], -v[32:33]
	v_add_f64_e64 v[34:35], v[8:9], -v[34:35]
	v_add_f64_e64 v[36:37], v[10:11], -v[36:37]
	v_add_f64_e64 v[38:39], v[14:15], -v[38:39]
	v_add_f64_e64 v[40:41], v[16:17], -v[40:41]
	v_add_f64_e64 v[42:43], v[18:19], -v[42:43]
	v_add_f64_e64 v[44:45], v[20:21], -v[44:45]
	v_add_f64_e64 v[46:47], v[22:23], -v[46:47]
	v_add_f64_e64 v[48:49], v[24:25], -v[48:49]
	v_add_f64_e64 v[50:51], v[57:58], -v[50:51]
	v_add_f64_e64 v[52:53], v[59:60], -v[52:53]
	v_fma_f64 v[0:1], v[0:1], 2.0, -v[26:27]
	v_fma_f64 v[2:3], v[2:3], 2.0, -v[28:29]
	;; [unrolled: 1-line block ×14, first 2 shown]
	v_add_nc_u32_e32 v58, v80, v75
	v_add_nc_u32_e32 v59, v80, v76
	;; [unrolled: 1-line block ×3, first 2 shown]
	ds_store_b128 v12, v[0:3]
	ds_store_b128 v12, v[26:29] offset:208
	ds_store_b128 v12, v[4:7] offset:416
	;; [unrolled: 1-line block ×13, first 2 shown]
	global_wb scope:SCOPE_SE
	s_wait_dscnt 0x0
	s_barrier_signal -1
	s_barrier_wait -1
	global_inv scope:SCOPE_SE
	s_and_saveexec_b32 s0, vcc_lo
	s_cbranch_execz .LBB0_19
; %bb.18:
	v_add_nc_u32_e32 v1, 13, v108
	v_mul_u32_u24_e32 v0, 6, v108
	v_mul_hi_u32 v100, 0x4ec4ec4f, v108
	v_mul_lo_u32 v98, s3, v106
	v_mul_lo_u32 v99, s2, v107
	v_mul_u32_u24_e32 v1, 6, v1
	v_lshlrev_b32_e32 v0, 4, v0
	v_mad_co_u64_u32 v[102:103], null, s2, v106, 0
	v_add_nc_u32_e32 v106, 13, v108
	s_delay_alu instid0(VALU_DEP_4)
	v_lshlrev_b32_e32 v4, 4, v1
	s_clause 0x3
	global_load_b128 v[14:17], v0, s[8:9] offset:224
	global_load_b128 v[18:21], v0, s[8:9] offset:272
	global_load_b128 v[22:25], v0, s[8:9] offset:208
	global_load_b128 v[26:29], v0, s[8:9] offset:288
	v_lshrrev_b32_e32 v113, 3, v100
	s_mov_b32 s20, 0xe976ee23
	v_mul_hi_u32 v107, 0x4ec4ec4f, v106
	s_clause 0x7
	global_load_b128 v[30:33], v4, s[8:9] offset:224
	global_load_b128 v[34:37], v4, s[8:9] offset:272
	;; [unrolled: 1-line block ×8, first 2 shown]
	ds_load_b128 v[50:53], v12 offset:1872
	ds_load_b128 v[54:57], v12 offset:1664
	;; [unrolled: 1-line block ×12, first 2 shown]
	v_add3_u32 v103, v103, v99, v98
	ds_load_b128 v[98:101], v12 offset:208
	ds_load_b128 v[109:112], v13
	v_lshlrev_b64_e32 v[12:13], 4, v[104:105]
	v_mul_lo_u32 v104, v113, 26
	v_lshrrev_b32_e32 v127, 3, v107
	v_lshlrev_b64_e32 v[102:103], 4, v[102:103]
	s_mov_b32 s18, 0x36b3c0b5
	s_mov_b32 s22, 0x37e14327
	;; [unrolled: 1-line block ×3, first 2 shown]
	v_mul_lo_u32 v105, v127, 26
	s_mov_b32 s21, 0xbfe11646
	v_sub_nc_u32_e32 v136, v108, v104
	v_add_co_u32 v102, vcc_lo, s6, v102
	s_wait_alu 0xfffd
	v_add_co_ci_u32_e32 v103, vcc_lo, s7, v103, vcc_lo
	s_delay_alu instid0(VALU_DEP_3) | instskip(NEXT) | instid1(VALU_DEP_3)
	v_add_nc_u32_e32 v148, 0x68, v136
	v_add_co_u32 v143, vcc_lo, v102, v12
	s_wait_alu 0xfffd
	s_delay_alu instid0(VALU_DEP_3) | instskip(NEXT) | instid1(VALU_DEP_3)
	v_add_co_ci_u32_e32 v144, vcc_lo, v103, v13, vcc_lo
	v_mad_co_u64_u32 v[121:122], null, s16, v148, 0
	v_add_nc_u32_e32 v147, 0x4e, v136
	v_sub_nc_u32_e32 v102, v106, v105
	v_mad_co_u64_u32 v[12:13], null, s16, v136, 0
	v_add_nc_u32_e32 v146, 52, v136
	s_delay_alu instid0(VALU_DEP_4) | instskip(SKIP_2) | instid1(VALU_DEP_4)
	v_mad_co_u64_u32 v[107:108], null, s16, v147, 0
	v_add_nc_u32_e32 v145, 26, v136
	v_add_nc_u32_e32 v149, 0x82, v136
	v_mad_co_u64_u32 v[105:106], null, s16, v146, 0
	s_mov_b32 s19, 0x3fac98ee
	s_delay_alu instid0(VALU_DEP_3) | instskip(NEXT) | instid1(VALU_DEP_3)
	v_mad_co_u64_u32 v[103:104], null, s16, v145, 0
	v_mad_co_u64_u32 v[123:124], null, s16, v149, 0
	s_mov_b32 s23, 0x3fe948f6
	s_mov_b32 s5, 0x3febfeb5
	;; [unrolled: 1-line block ×4, first 2 shown]
	s_delay_alu instid0(VALU_DEP_2)
	v_mad_co_u64_u32 v[127:128], null, 0xb6, v127, v[102:103]
	v_mov_b32_e32 v102, v106
	v_mov_b32_e32 v106, v122
	s_mov_b32 s14, 0x5476071b
	s_mov_b32 s13, 0x3fd5d0dc
	;; [unrolled: 1-line block ×4, first 2 shown]
	s_delay_alu instid0(VALU_DEP_3)
	v_add_nc_u32_e32 v151, 0x82, v127
	s_mov_b32 s15, 0xbfe77f67
	s_mov_b32 s11, 0x3fe77f67
	s_wait_alu 0xfffe
	s_mov_b32 s8, s12
	s_mov_b32 s10, s14
	;; [unrolled: 1-line block ×4, first 2 shown]
	s_wait_loadcnt_dscnt 0xb08
	v_mul_f64_e32 v[113:114], v[16:17], v[72:73]
	s_wait_loadcnt_dscnt 0xa06
	v_mul_f64_e32 v[115:116], v[20:21], v[80:81]
	v_mul_f64_e32 v[72:73], v[14:15], v[72:73]
	;; [unrolled: 1-line block ×3, first 2 shown]
	s_wait_loadcnt_dscnt 0x505
	v_mul_f64_e32 v[132:133], v[38:39], v[84:85]
	v_mul_f64_e32 v[84:85], v[40:41], v[84:85]
	s_wait_dscnt 0x4
	v_mul_f64_e32 v[117:118], v[24:25], v[88:89]
	v_mul_f64_e32 v[88:89], v[22:23], v[88:89]
	s_wait_dscnt 0x2
	v_mul_f64_e32 v[119:120], v[26:27], v[96:97]
	v_mul_f64_e32 v[96:97], v[28:29], v[96:97]
	v_mul_f64_e32 v[128:129], v[32:33], v[68:69]
	v_mul_f64_e32 v[130:131], v[36:37], v[76:77]
	v_mul_f64_e32 v[68:69], v[30:31], v[68:69]
	v_mul_f64_e32 v[76:77], v[34:35], v[76:77]
	s_wait_loadcnt 0x4
	v_mul_f64_e32 v[134:135], v[42:43], v[92:93]
	v_mul_f64_e32 v[92:93], v[44:45], v[92:93]
	s_wait_loadcnt 0x3
	v_mul_f64_e32 v[139:140], v[10:11], v[56:57]
	s_wait_loadcnt 0x2
	v_mul_f64_e32 v[141:142], v[48:49], v[64:65]
	v_mul_f64_e32 v[56:57], v[8:9], v[56:57]
	;; [unrolled: 1-line block ×3, first 2 shown]
	v_fma_f64 v[18:19], v[18:19], v[78:79], -v[115:116]
	v_fma_f64 v[16:17], v[70:71], v[16:17], v[72:73]
	v_fma_f64 v[20:21], v[78:79], v[20:21], v[80:81]
	s_wait_loadcnt 0x0
	v_mul_f64_e32 v[72:73], v[6:7], v[60:61]
	v_mul_f64_e32 v[60:61], v[4:5], v[60:61]
	v_fma_f64 v[40:41], v[82:83], v[40:41], v[132:133]
	v_fma_f64 v[38:39], v[38:39], v[82:83], -v[84:85]
	v_mad_co_u64_u32 v[81:82], null, s16, v151, 0
	v_add_nc_u32_e32 v150, 0x9c, v136
	v_mad_co_u64_u32 v[136:137], null, s17, v136, v[13:14]
	v_fma_f64 v[14:15], v[14:15], v[70:71], -v[113:114]
	v_mul_f64_e32 v[70:71], v[2:3], v[52:53]
	v_mul_f64_e32 v[52:53], v[0:1], v[52:53]
	v_fma_f64 v[24:25], v[86:87], v[24:25], v[88:89]
	v_fma_f64 v[28:29], v[94:95], v[28:29], v[119:120]
	v_fma_f64 v[22:23], v[22:23], v[86:87], -v[117:118]
	v_fma_f64 v[26:27], v[26:27], v[94:95], -v[96:97]
	v_fma_f64 v[30:31], v[30:31], v[66:67], -v[128:129]
	v_fma_f64 v[32:33], v[66:67], v[32:33], v[68:69]
	v_fma_f64 v[36:37], v[74:75], v[36:37], v[76:77]
	;; [unrolled: 1-line block ×3, first 2 shown]
	v_fma_f64 v[34:35], v[34:35], v[74:75], -v[130:131]
	v_fma_f64 v[42:43], v[42:43], v[90:91], -v[92:93]
	v_mad_co_u64_u32 v[125:126], null, s16, v150, 0
	v_fma_f64 v[8:9], v[8:9], v[54:55], -v[139:140]
	v_fma_f64 v[46:47], v[46:47], v[62:63], -v[141:142]
	v_dual_mov_b32 v13, v104 :: v_dual_mov_b32 v104, v108
	v_mov_b32_e32 v108, v124
	v_mad_co_u64_u32 v[137:138], null, s16, v127, 0
	v_dual_mov_b32 v122, v126 :: v_dual_add_nc_u32 v95, 52, v127
	v_fma_f64 v[10:11], v[54:55], v[10:11], v[56:57]
	s_wait_dscnt 0x0
	v_mad_co_u64_u32 v[54:55], null, s17, v149, v[108:109]
	v_mad_co_u64_u32 v[74:75], null, s17, v148, v[106:107]
	v_fma_f64 v[4:5], v[4:5], v[58:59], -v[72:73]
	v_fma_f64 v[6:7], v[58:59], v[6:7], v[60:61]
	v_mad_co_u64_u32 v[55:56], null, s17, v150, v[122:123]
	v_fma_f64 v[48:49], v[62:63], v[48:49], v[64:65]
	v_add_f64_e32 v[56:57], v[16:17], v[20:21]
	v_mov_b32_e32 v73, v138
	v_add_f64_e64 v[16:17], v[16:17], -v[20:21]
	v_mov_b32_e32 v122, v74
	v_add_f64_e32 v[64:65], v[14:15], v[18:19]
	v_fma_f64 v[0:1], v[0:1], v[50:51], -v[70:71]
	v_fma_f64 v[2:3], v[50:51], v[2:3], v[52:53]
	v_mad_co_u64_u32 v[66:67], null, s17, v145, v[13:14]
	v_add_f64_e32 v[62:63], v[24:25], v[28:29]
	v_add_f64_e32 v[75:76], v[22:23], v[26:27]
	v_mad_co_u64_u32 v[67:68], null, s17, v146, v[102:103]
	v_mad_co_u64_u32 v[68:69], null, s17, v147, v[104:105]
	v_add_f64_e32 v[60:61], v[32:33], v[36:37]
	v_add_f64_e32 v[69:70], v[40:41], v[44:45]
	;; [unrolled: 1-line block ×4, first 2 shown]
	v_add_f64_e64 v[20:21], v[22:23], -v[26:27]
	v_add_f64_e64 v[22:23], v[24:25], -v[28:29]
	v_mad_co_u64_u32 v[28:29], null, s17, v127, v[73:74]
	v_add_f64_e64 v[29:30], v[30:31], -v[34:35]
	v_dual_mov_b32 v104, v66 :: v_dual_add_nc_u32 v113, 0x4e, v127
	v_mov_b32_e32 v106, v67
	v_add_f64_e64 v[66:67], v[8:9], -v[46:47]
	v_add_f64_e32 v[8:9], v[8:9], v[46:47]
	s_delay_alu instid0(VALU_DEP_4)
	v_mad_co_u64_u32 v[52:53], null, s16, v113, 0
	v_add_f64_e64 v[14:15], v[14:15], -v[18:19]
	v_mov_b32_e32 v108, v68
	v_mov_b32_e32 v124, v54
	v_add_nc_u32_e32 v94, 26, v127
	v_mad_co_u64_u32 v[50:51], null, s16, v95, 0
	v_add_f64_e32 v[18:19], v[10:11], v[48:49]
	v_add_f64_e64 v[10:11], v[10:11], -v[48:49]
	v_lshlrev_b64_e32 v[73:74], 4, v[107:108]
	v_mad_co_u64_u32 v[77:78], null, s16, v94, 0
	v_lshlrev_b64_e32 v[48:49], 4, v[103:104]
	v_add_f64_e64 v[46:47], v[0:1], -v[4:5]
	v_add_f64_e32 v[34:35], v[2:3], v[6:7]
	v_add_f64_e32 v[0:1], v[0:1], v[4:5]
	v_add_f64_e64 v[4:5], v[2:3], -v[6:7]
	v_add_f64_e64 v[2:3], v[32:33], -v[36:37]
	v_add_f64_e64 v[31:32], v[38:39], -v[42:43]
	v_add_f64_e64 v[39:40], v[40:41], -v[44:45]
	v_add_f64_e32 v[24:25], v[56:57], v[62:63]
	v_add_f64_e32 v[26:27], v[64:65], v[75:76]
	v_mov_b32_e32 v33, v53
	v_lshlrev_b64_e32 v[53:54], 4, v[105:106]
	v_add_f64_e32 v[36:37], v[60:61], v[69:70]
	v_mov_b32_e32 v6, v78
	v_add_f64_e32 v[41:42], v[71:72], v[79:80]
	v_mov_b32_e32 v7, v51
	v_mov_b32_e32 v43, v82
	v_add_f64_e64 v[104:105], v[16:17], -v[22:23]
	v_mov_b32_e32 v126, v55
	v_lshlrev_b64_e32 v[86:87], 4, v[123:124]
	v_mad_co_u64_u32 v[90:91], null, s17, v94, v[6:7]
	v_mov_b32_e32 v13, v136
	s_delay_alu instid0(VALU_DEP_4)
	v_lshlrev_b64_e32 v[88:89], 4, v[125:126]
	v_mad_co_u64_u32 v[91:92], null, s17, v95, v[7:8]
	v_add_f64_e64 v[94:95], v[75:76], -v[8:9]
	v_add_f64_e64 v[6:7], v[66:67], -v[14:15]
	;; [unrolled: 1-line block ×3, first 2 shown]
	v_lshlrev_b64_e32 v[12:13], 4, v[12:13]
	v_dual_mov_b32 v138, v28 :: v_dual_mov_b32 v51, v91
	v_add_f64_e64 v[92:93], v[62:63], -v[18:19]
	v_add_f64_e64 v[96:97], v[10:11], -v[16:17]
	s_delay_alu instid0(VALU_DEP_4)
	v_add_co_u32 v126, vcc_lo, v143, v12
	v_add_f64_e32 v[16:17], v[10:11], v[16:17]
	v_add_f64_e64 v[10:11], v[22:23], -v[10:11]
	v_mad_co_u64_u32 v[106:107], null, s17, v113, v[33:34]
	v_add_nc_u32_e32 v114, 0x68, v127
	v_add_f64_e64 v[115:116], v[69:70], -v[34:35]
	v_add_f64_e64 v[117:118], v[79:80], -v[0:1]
	;; [unrolled: 1-line block ×3, first 2 shown]
	v_add_f64_e32 v[24:25], v[18:19], v[24:25]
	v_mad_co_u64_u32 v[58:59], null, s16, v114, 0
	v_add_f64_e32 v[26:27], v[8:9], v[26:27]
	v_add_f64_e64 v[8:9], v[8:9], -v[64:65]
	v_add_f64_e64 v[18:19], v[18:19], -v[56:57]
	v_add_f64_e32 v[41:42], v[0:1], v[41:42]
	v_add_f64_e64 v[55:56], v[56:57], -v[62:63]
	v_add_f64_e64 v[62:63], v[64:65], -v[75:76]
	v_mov_b32_e32 v38, v59
	v_mul_f64_e32 v[130:131], s[4:5], v[104:105]
	v_add_f64_e64 v[64:65], v[39:40], -v[4:5]
	s_delay_alu instid0(VALU_DEP_3)
	v_mad_co_u64_u32 v[107:108], null, s17, v114, v[38:39]
	v_add_nc_u32_e32 v128, 0x9c, v127
	v_add_f64_e64 v[113:114], v[46:47], -v[29:30]
	s_wait_alu 0xfffd
	v_add_co_ci_u32_e32 v127, vcc_lo, v144, v13, vcc_lo
	v_add_f64_e32 v[12:13], v[66:67], v[14:15]
	v_mad_co_u64_u32 v[83:84], null, s16, v128, 0
	v_add_f64_e64 v[14:15], v[20:21], -v[66:67]
	v_mul_f64_e32 v[66:67], s[20:21], v[6:7]
	v_mul_f64_e32 v[92:93], s[22:23], v[92:93]
	;; [unrolled: 1-line block ×4, first 2 shown]
	v_mov_b32_e32 v44, v84
	v_lshlrev_b64_e32 v[84:85], 4, v[121:122]
	v_add_f64_e64 v[121:122], v[29:30], -v[31:32]
	v_add_f64_e32 v[28:29], v[46:47], v[29:30]
	v_add_f64_e64 v[46:47], v[31:32], -v[46:47]
	v_mad_co_u64_u32 v[123:124], null, s17, v151, v[43:44]
	v_add_f64_e64 v[124:125], v[34:35], -v[60:61]
	v_add_f64_e32 v[33:34], v[34:35], v[36:37]
	v_add_f64_e64 v[37:38], v[2:3], -v[39:40]
	v_add_f64_e64 v[35:36], v[0:1], -v[71:72]
	v_mad_co_u64_u32 v[43:44], null, s17, v128, v[44:45]
	v_add_f64_e32 v[44:45], v[4:5], v[2:3]
	v_mul_f64_e32 v[128:129], s[4:5], v[102:103]
	v_add_f64_e32 v[2:3], v[111:112], v[24:25]
	v_add_f64_e32 v[0:1], v[109:110], v[26:27]
	v_mul_f64_e32 v[108:109], s[18:19], v[8:9]
	v_mul_f64_e32 v[75:76], s[18:19], v[18:19]
	v_add_f64_e64 v[59:60], v[60:61], -v[69:70]
	v_add_f64_e32 v[4:5], v[98:99], v[41:42]
	v_add_f64_e64 v[68:69], v[71:72], -v[79:80]
	v_add_co_u32 v98, vcc_lo, v143, v48
	s_wait_alu 0xfffd
	v_add_co_ci_u32_e32 v99, vcc_lo, v144, v49, vcc_lo
	v_mul_f64_e32 v[110:111], s[20:21], v[113:114]
	v_mul_f64_e32 v[112:113], s[22:23], v[115:116]
	;; [unrolled: 1-line block ×4, first 2 shown]
	v_add_co_u32 v132, vcc_lo, v143, v53
	s_wait_alu 0xfffd
	v_add_co_ci_u32_e32 v133, vcc_lo, v144, v54, vcc_lo
	v_add_f64_e32 v[12:13], v[12:13], v[20:21]
	v_add_f64_e32 v[16:17], v[16:17], v[22:23]
	v_fma_f64 v[18:19], v[18:19], s[18:19], v[92:93]
	v_fma_f64 v[8:9], v[8:9], s[18:19], v[94:95]
	v_fma_f64 v[48:49], v[55:56], s[14:15], -v[92:93]
	v_fma_f64 v[53:54], v[62:63], s[14:15], -v[94:95]
	v_mul_f64_e32 v[118:119], s[4:5], v[121:122]
	v_add_f64_e32 v[20:21], v[28:29], v[31:32]
	v_fma_f64 v[28:29], v[14:15], s[12:13], v[66:67]
	v_fma_f64 v[30:31], v[10:11], s[12:13], v[96:97]
	s_wait_alu 0xfffe
	v_fma_f64 v[10:11], v[10:11], s[8:9], -v[130:131]
	v_mul_f64_e32 v[70:71], s[18:19], v[124:125]
	v_add_f64_e32 v[6:7], v[100:101], v[33:34]
	v_mul_f64_e32 v[100:101], s[4:5], v[37:38]
	v_mul_f64_e32 v[78:79], s[18:19], v[35:36]
	v_mov_b32_e32 v82, v123
	v_add_f64_e32 v[22:23], v[44:45], v[39:40]
	v_fma_f64 v[14:15], v[14:15], s[8:9], -v[128:129]
	v_fma_f64 v[44:45], v[104:105], s[4:5], -v[96:97]
	v_fma_f64 v[24:25], v[24:25], s[2:3], v[2:3]
	v_fma_f64 v[26:27], v[26:27], s[2:3], v[0:1]
	v_fma_f64 v[61:62], v[62:63], s[10:11], -v[108:109]
	v_fma_f64 v[39:40], v[102:103], s[4:5], -v[66:67]
	;; [unrolled: 1-line block ×3, first 2 shown]
	v_fma_f64 v[41:42], v[41:42], s[2:3], v[4:5]
	v_lshlrev_b64_e32 v[81:82], 4, v[81:82]
	v_fma_f64 v[66:67], v[46:47], s[12:13], v[110:111]
	v_fma_f64 v[75:76], v[124:125], s[18:19], v[112:113]
	v_fma_f64 v[35:36], v[35:36], s[18:19], v[114:115]
	v_fma_f64 v[92:93], v[64:65], s[12:13], v[116:117]
	v_fma_f64 v[94:95], v[59:60], s[14:15], -v[112:113]
	v_fma_f64 v[102:103], v[68:69], s[14:15], -v[114:115]
	;; [unrolled: 1-line block ×5, first 2 shown]
	v_fma_f64 v[28:29], v[12:13], s[0:1], v[28:29]
	v_fma_f64 v[59:60], v[59:60], s[10:11], -v[70:71]
	v_fma_f64 v[32:33], v[33:34], s[2:3], v[6:7]
	v_fma_f64 v[63:64], v[64:65], s[8:9], -v[100:101]
	v_fma_f64 v[68:69], v[68:69], s[10:11], -v[78:79]
	v_add_co_u32 v70, vcc_lo, v143, v73
	s_wait_alu 0xfffd
	v_add_co_ci_u32_e32 v71, vcc_lo, v144, v74, vcc_lo
	v_add_co_u32 v72, vcc_lo, v143, v84
	s_wait_alu 0xfffd
	v_add_co_ci_u32_e32 v73, vcc_lo, v144, v85, vcc_lo
	v_add_co_u32 v79, vcc_lo, v143, v86
	v_fma_f64 v[85:86], v[16:17], s[0:1], v[30:31]
	v_fma_f64 v[30:31], v[12:13], s[0:1], v[14:15]
	;; [unrolled: 1-line block ×3, first 2 shown]
	v_add_f64_e32 v[104:105], v[18:19], v[24:25]
	v_add_f64_e32 v[108:109], v[8:9], v[26:27]
	;; [unrolled: 1-line block ×5, first 2 shown]
	v_fma_f64 v[100:101], v[16:17], s[0:1], v[10:11]
	v_fma_f64 v[39:40], v[12:13], s[0:1], v[39:40]
	v_add_f64_e32 v[24:25], v[55:56], v[24:25]
	s_wait_alu 0xfffd
	v_add_co_ci_u32_e32 v80, vcc_lo, v144, v87, vcc_lo
	v_add_co_u32 v56, vcc_lo, v143, v88
	v_fma_f64 v[54:55], v[20:21], s[0:1], v[66:67]
	v_fma_f64 v[87:88], v[22:23], s[0:1], v[92:93]
	;; [unrolled: 1-line block ×3, first 2 shown]
	v_lshlrev_b64_e32 v[8:9], 4, v[137:138]
	v_fma_f64 v[61:62], v[20:21], s[0:1], v[46:47]
	v_fma_f64 v[46:47], v[20:21], s[0:1], v[96:97]
	s_wait_alu 0xfffd
	v_add_co_ci_u32_e32 v57, vcc_lo, v144, v89, vcc_lo
	v_dual_mov_b32 v53, v106 :: v_dual_mov_b32 v78, v90
	v_add_f64_e32 v[65:66], v[75:76], v[32:33]
	v_add_f64_e32 v[74:75], v[94:95], v[32:33]
	;; [unrolled: 1-line block ×3, first 2 shown]
	v_fma_f64 v[63:64], v[22:23], s[0:1], v[63:64]
	v_add_f64_e32 v[36:37], v[102:103], v[41:42]
	v_add_f64_e32 v[32:33], v[59:60], v[32:33]
	v_mov_b32_e32 v59, v107
	v_add_f64_e32 v[67:68], v[68:69], v[41:42]
	v_add_co_u32 v102, vcc_lo, v143, v8
	s_wait_alu 0xfffd
	v_add_co_ci_u32_e32 v103, vcc_lo, v144, v9, vcc_lo
	v_lshlrev_b64_e32 v[96:97], 4, v[52:53]
	v_lshlrev_b64_e32 v[89:90], 4, v[50:51]
	v_mov_b32_e32 v84, v43
	v_lshlrev_b64_e32 v[76:77], 4, v[77:78]
	v_add_f64_e32 v[10:11], v[28:29], v[104:105]
	v_add_f64_e64 v[8:9], v[108:109], -v[85:86]
	v_add_f64_e32 v[14:15], v[30:31], v[48:49]
	v_lshlrev_b64_e32 v[58:59], 4, v[58:59]
	v_add_f64_e32 v[16:17], v[44:45], v[26:27]
	v_add_f64_e64 v[20:21], v[26:27], -v[44:45]
	v_add_f64_e64 v[26:27], v[48:49], -v[30:31]
	;; [unrolled: 1-line block ×3, first 2 shown]
	v_add_f64_e32 v[28:29], v[85:86], v[108:109]
	v_add_f64_e64 v[18:19], v[24:25], -v[39:40]
	v_add_f64_e32 v[22:23], v[39:40], v[24:25]
	v_add_f64_e32 v[24:25], v[100:101], v[110:111]
	v_add_f64_e64 v[12:13], v[110:111], -v[100:101]
	v_add_co_u32 v60, vcc_lo, v143, v76
	v_lshlrev_b64_e32 v[83:84], 4, v[83:84]
	v_add_f64_e32 v[34:35], v[54:55], v[65:66]
	v_add_f64_e64 v[54:55], v[65:66], -v[54:55]
	v_add_f64_e32 v[52:53], v[87:88], v[94:95]
	v_add_f64_e64 v[50:51], v[74:75], -v[61:62]
	;; [unrolled: 2-line block ×4, first 2 shown]
	v_add_f64_e32 v[40:41], v[92:93], v[67:68]
	v_add_f64_e32 v[38:39], v[61:62], v[74:75]
	v_add_f64_e64 v[36:37], v[36:37], -v[63:64]
	v_add_f64_e64 v[32:33], v[94:95], -v[87:88]
	s_wait_alu 0xfffd
	v_add_co_ci_u32_e32 v61, vcc_lo, v144, v77, vcc_lo
	v_add_co_u32 v62, vcc_lo, v143, v89
	s_wait_alu 0xfffd
	v_add_co_ci_u32_e32 v63, vcc_lo, v144, v90, vcc_lo
	v_add_co_u32 v64, vcc_lo, v143, v96
	;; [unrolled: 3-line block ×5, first 2 shown]
	s_wait_alu 0xfffd
	v_add_co_ci_u32_e32 v69, vcc_lo, v144, v84, vcc_lo
	s_clause 0xd
	global_store_b128 v[126:127], v[0:3], off
	global_store_b128 v[98:99], v[28:31], off
	;; [unrolled: 1-line block ×14, first 2 shown]
.LBB0_19:
	s_nop 0
	s_sendmsg sendmsg(MSG_DEALLOC_VGPRS)
	s_endpgm
	.section	.rodata,"a",@progbits
	.p2align	6, 0x0
	.amdhsa_kernel fft_rtc_fwd_len182_factors_13_2_7_wgs_52_tpt_13_dp_op_CI_CI_sbrr_dirReg
		.amdhsa_group_segment_fixed_size 0
		.amdhsa_private_segment_fixed_size 0
		.amdhsa_kernarg_size 104
		.amdhsa_user_sgpr_count 2
		.amdhsa_user_sgpr_dispatch_ptr 0
		.amdhsa_user_sgpr_queue_ptr 0
		.amdhsa_user_sgpr_kernarg_segment_ptr 1
		.amdhsa_user_sgpr_dispatch_id 0
		.amdhsa_user_sgpr_private_segment_size 0
		.amdhsa_wavefront_size32 1
		.amdhsa_uses_dynamic_stack 0
		.amdhsa_enable_private_segment 0
		.amdhsa_system_sgpr_workgroup_id_x 1
		.amdhsa_system_sgpr_workgroup_id_y 0
		.amdhsa_system_sgpr_workgroup_id_z 0
		.amdhsa_system_sgpr_workgroup_info 0
		.amdhsa_system_vgpr_workitem_id 0
		.amdhsa_next_free_vgpr 252
		.amdhsa_next_free_sgpr 48
		.amdhsa_reserve_vcc 1
		.amdhsa_float_round_mode_32 0
		.amdhsa_float_round_mode_16_64 0
		.amdhsa_float_denorm_mode_32 3
		.amdhsa_float_denorm_mode_16_64 3
		.amdhsa_fp16_overflow 0
		.amdhsa_workgroup_processor_mode 1
		.amdhsa_memory_ordered 1
		.amdhsa_forward_progress 0
		.amdhsa_round_robin_scheduling 0
		.amdhsa_exception_fp_ieee_invalid_op 0
		.amdhsa_exception_fp_denorm_src 0
		.amdhsa_exception_fp_ieee_div_zero 0
		.amdhsa_exception_fp_ieee_overflow 0
		.amdhsa_exception_fp_ieee_underflow 0
		.amdhsa_exception_fp_ieee_inexact 0
		.amdhsa_exception_int_div_zero 0
	.end_amdhsa_kernel
	.text
.Lfunc_end0:
	.size	fft_rtc_fwd_len182_factors_13_2_7_wgs_52_tpt_13_dp_op_CI_CI_sbrr_dirReg, .Lfunc_end0-fft_rtc_fwd_len182_factors_13_2_7_wgs_52_tpt_13_dp_op_CI_CI_sbrr_dirReg
                                        ; -- End function
	.section	.AMDGPU.csdata,"",@progbits
; Kernel info:
; codeLenInByte = 12664
; NumSgprs: 50
; NumVgprs: 252
; ScratchSize: 0
; MemoryBound: 1
; FloatMode: 240
; IeeeMode: 1
; LDSByteSize: 0 bytes/workgroup (compile time only)
; SGPRBlocks: 6
; VGPRBlocks: 31
; NumSGPRsForWavesPerEU: 50
; NumVGPRsForWavesPerEU: 252
; Occupancy: 5
; WaveLimiterHint : 1
; COMPUTE_PGM_RSRC2:SCRATCH_EN: 0
; COMPUTE_PGM_RSRC2:USER_SGPR: 2
; COMPUTE_PGM_RSRC2:TRAP_HANDLER: 0
; COMPUTE_PGM_RSRC2:TGID_X_EN: 1
; COMPUTE_PGM_RSRC2:TGID_Y_EN: 0
; COMPUTE_PGM_RSRC2:TGID_Z_EN: 0
; COMPUTE_PGM_RSRC2:TIDIG_COMP_CNT: 0
	.text
	.p2alignl 7, 3214868480
	.fill 96, 4, 3214868480
	.type	__hip_cuid_d1cd75be43fc7807,@object ; @__hip_cuid_d1cd75be43fc7807
	.section	.bss,"aw",@nobits
	.globl	__hip_cuid_d1cd75be43fc7807
__hip_cuid_d1cd75be43fc7807:
	.byte	0                               ; 0x0
	.size	__hip_cuid_d1cd75be43fc7807, 1

	.ident	"AMD clang version 19.0.0git (https://github.com/RadeonOpenCompute/llvm-project roc-6.4.0 25133 c7fe45cf4b819c5991fe208aaa96edf142730f1d)"
	.section	".note.GNU-stack","",@progbits
	.addrsig
	.addrsig_sym __hip_cuid_d1cd75be43fc7807
	.amdgpu_metadata
---
amdhsa.kernels:
  - .args:
      - .actual_access:  read_only
        .address_space:  global
        .offset:         0
        .size:           8
        .value_kind:     global_buffer
      - .offset:         8
        .size:           8
        .value_kind:     by_value
      - .actual_access:  read_only
        .address_space:  global
        .offset:         16
        .size:           8
        .value_kind:     global_buffer
      - .actual_access:  read_only
        .address_space:  global
        .offset:         24
        .size:           8
        .value_kind:     global_buffer
      - .actual_access:  read_only
        .address_space:  global
        .offset:         32
        .size:           8
        .value_kind:     global_buffer
      - .offset:         40
        .size:           8
        .value_kind:     by_value
      - .actual_access:  read_only
        .address_space:  global
        .offset:         48
        .size:           8
        .value_kind:     global_buffer
      - .actual_access:  read_only
        .address_space:  global
        .offset:         56
        .size:           8
        .value_kind:     global_buffer
      - .offset:         64
        .size:           4
        .value_kind:     by_value
      - .actual_access:  read_only
        .address_space:  global
        .offset:         72
        .size:           8
        .value_kind:     global_buffer
      - .actual_access:  read_only
        .address_space:  global
        .offset:         80
        .size:           8
        .value_kind:     global_buffer
      - .actual_access:  read_only
        .address_space:  global
        .offset:         88
        .size:           8
        .value_kind:     global_buffer
      - .actual_access:  write_only
        .address_space:  global
        .offset:         96
        .size:           8
        .value_kind:     global_buffer
    .group_segment_fixed_size: 0
    .kernarg_segment_align: 8
    .kernarg_segment_size: 104
    .language:       OpenCL C
    .language_version:
      - 2
      - 0
    .max_flat_workgroup_size: 52
    .name:           fft_rtc_fwd_len182_factors_13_2_7_wgs_52_tpt_13_dp_op_CI_CI_sbrr_dirReg
    .private_segment_fixed_size: 0
    .sgpr_count:     50
    .sgpr_spill_count: 0
    .symbol:         fft_rtc_fwd_len182_factors_13_2_7_wgs_52_tpt_13_dp_op_CI_CI_sbrr_dirReg.kd
    .uniform_work_group_size: 1
    .uses_dynamic_stack: false
    .vgpr_count:     252
    .vgpr_spill_count: 0
    .wavefront_size: 32
    .workgroup_processor_mode: 1
amdhsa.target:   amdgcn-amd-amdhsa--gfx1201
amdhsa.version:
  - 1
  - 2
...

	.end_amdgpu_metadata
